;; amdgpu-corpus repo=ROCm/rocFFT kind=compiled arch=gfx906 opt=O3
	.text
	.amdgcn_target "amdgcn-amd-amdhsa--gfx906"
	.amdhsa_code_object_version 6
	.protected	bluestein_single_fwd_len528_dim1_dp_op_CI_CI ; -- Begin function bluestein_single_fwd_len528_dim1_dp_op_CI_CI
	.globl	bluestein_single_fwd_len528_dim1_dp_op_CI_CI
	.p2align	8
	.type	bluestein_single_fwd_len528_dim1_dp_op_CI_CI,@function
bluestein_single_fwd_len528_dim1_dp_op_CI_CI: ; @bluestein_single_fwd_len528_dim1_dp_op_CI_CI
; %bb.0:
	s_load_dwordx4 s[8:11], s[4:5], 0x28
	v_mul_u32_u24_e32 v1, 0x556, v0
	v_add_u32_sdwa v142, s6, v1 dst_sel:DWORD dst_unused:UNUSED_PAD src0_sel:DWORD src1_sel:WORD_1
	v_mov_b32_e32 v143, 0
	s_waitcnt lgkmcnt(0)
	v_cmp_gt_u64_e32 vcc, s[8:9], v[142:143]
	s_and_saveexec_b64 s[0:1], vcc
	s_cbranch_execz .LBB0_31
; %bb.1:
	s_load_dwordx4 s[12:15], s[4:5], 0x18
	v_mov_b32_e32 v2, 48
	v_mul_lo_u16_sdwa v1, v1, v2 dst_sel:DWORD dst_unused:UNUSED_PAD src0_sel:WORD_1 src1_sel:DWORD
	v_sub_u16_e32 v144, v0, v1
	v_lshlrev_b32_e32 v143, 4, v144
	s_waitcnt lgkmcnt(0)
	s_load_dwordx4 s[0:3], s[12:13], 0x0
	s_waitcnt lgkmcnt(0)
	v_mad_u64_u32 v[0:1], s[6:7], s2, v142, 0
	v_mad_u64_u32 v[2:3], s[6:7], s0, v144, 0
	s_load_dwordx2 s[12:13], s[4:5], 0x0
	s_mul_i32 s6, s1, 0x84
	v_mad_u64_u32 v[4:5], s[2:3], s3, v142, v[1:2]
	s_mul_hi_u32 s7, s0, 0x84
	s_add_i32 s7, s7, s6
	v_mad_u64_u32 v[5:6], s[2:3], s1, v144, v[3:4]
	v_mov_b32_e32 v1, v4
	v_lshlrev_b64 v[0:1], 4, v[0:1]
	v_mov_b32_e32 v6, s11
	v_mov_b32_e32 v3, v5
	v_add_co_u32_e32 v4, vcc, s10, v0
	v_addc_co_u32_e32 v5, vcc, v6, v1, vcc
	v_lshlrev_b64 v[0:1], 4, v[2:3]
	s_waitcnt lgkmcnt(0)
	v_add_co_u32_e64 v140, s[2:3], s12, v143
	v_add_co_u32_e32 v8, vcc, v4, v0
	v_mov_b32_e32 v0, s13
	s_mul_i32 s6, s0, 0x84
	v_addc_co_u32_e32 v9, vcc, v5, v1, vcc
	v_addc_co_u32_e64 v141, vcc, 0, v0, s[2:3]
	s_lshl_b64 s[16:17], s[6:7], 4
	v_mov_b32_e32 v30, s17
	v_add_co_u32_e32 v10, vcc, s16, v8
	v_addc_co_u32_e32 v11, vcc, v9, v30, vcc
	v_add_co_u32_e32 v12, vcc, s16, v10
	v_addc_co_u32_e32 v13, vcc, v11, v30, vcc
	s_movk_i32 s6, 0x1000
	global_load_dwordx4 v[4:7], v143, s[12:13]
	v_add_co_u32_e32 v32, vcc, s6, v140
	s_mul_hi_u32 s6, s0, 0xfffffea4
	global_load_dwordx4 v[36:39], v[8:9], off
	global_load_dwordx4 v[40:43], v[10:11], off
	global_load_dwordx4 v[0:3], v143, s[12:13] offset:2112
	v_addc_co_u32_e32 v33, vcc, 0, v141, vcc
	s_mulk_i32 s1, 0xfea4
	s_sub_i32 s6, s6, s0
	global_load_dwordx4 v[44:47], v[12:13], off
	global_load_dwordx4 v[8:11], v[32:33], off offset:128
	v_add_co_u32_e32 v20, vcc, s16, v12
	s_add_i32 s1, s6, s1
	s_mulk_i32 s0, 0xfea4
	v_addc_co_u32_e32 v21, vcc, v13, v30, vcc
	global_load_dwordx4 v[12:15], v[32:33], off offset:2240
	s_lshl_b64 s[0:1], s[0:1], 4
	v_mov_b32_e32 v16, s1
	v_add_co_u32_e32 v22, vcc, s0, v20
	v_addc_co_u32_e32 v23, vcc, v21, v16, vcc
	global_load_dwordx4 v[48:51], v[20:21], off
	global_load_dwordx4 v[52:55], v[22:23], off
	global_load_dwordx4 v[16:19], v143, s[12:13] offset:768
	v_add_co_u32_e32 v24, vcc, s16, v22
	v_addc_co_u32_e32 v25, vcc, v23, v30, vcc
	v_add_co_u32_e32 v28, vcc, s16, v24
	global_load_dwordx4 v[56:59], v[24:25], off
	global_load_dwordx4 v[20:23], v143, s[12:13] offset:2880
	v_addc_co_u32_e32 v29, vcc, v25, v30, vcc
	global_load_dwordx4 v[60:63], v[28:29], off
	global_load_dwordx4 v[24:27], v[32:33], off offset:896
	v_add_co_u32_e32 v34, vcc, s16, v28
	v_addc_co_u32_e32 v35, vcc, v29, v30, vcc
	global_load_dwordx4 v[28:31], v[32:33], off offset:3008
	global_load_dwordx4 v[64:67], v[34:35], off
	s_load_dwordx2 s[6:7], s[4:5], 0x38
	s_load_dwordx4 s[8:11], s[14:15], 0x0
	v_cmp_gt_u16_e32 vcc, 36, v144
	s_waitcnt vmcnt(14)
	v_mul_f64 v[68:69], v[38:39], v[6:7]
	v_mul_f64 v[70:71], v[36:37], v[6:7]
	s_waitcnt vmcnt(12)
	v_mul_f64 v[72:73], v[42:43], v[2:3]
	v_mul_f64 v[74:75], v[40:41], v[2:3]
	;; [unrolled: 3-line block ×3, first 2 shown]
	v_fma_f64 v[36:37], v[36:37], v[4:5], v[68:69]
	v_fma_f64 v[38:39], v[38:39], v[4:5], -v[70:71]
	v_fma_f64 v[40:41], v[40:41], v[0:1], v[72:73]
	v_fma_f64 v[42:43], v[42:43], v[0:1], -v[74:75]
	;; [unrolled: 2-line block ×3, first 2 shown]
	s_waitcnt vmcnt(8)
	v_mul_f64 v[80:81], v[50:51], v[14:15]
	v_mul_f64 v[82:83], v[48:49], v[14:15]
	s_waitcnt vmcnt(6)
	v_mul_f64 v[84:85], v[54:55], v[18:19]
	v_mul_f64 v[68:69], v[52:53], v[18:19]
	v_fma_f64 v[48:49], v[48:49], v[12:13], v[80:81]
	s_waitcnt vmcnt(4)
	v_mul_f64 v[70:71], v[58:59], v[22:23]
	v_mul_f64 v[72:73], v[56:57], v[22:23]
	v_fma_f64 v[50:51], v[50:51], v[12:13], -v[82:83]
	s_waitcnt vmcnt(2)
	v_mul_f64 v[74:75], v[62:63], v[26:27]
	v_mul_f64 v[76:77], v[60:61], v[26:27]
	v_fma_f64 v[52:53], v[52:53], v[16:17], v[84:85]
	v_fma_f64 v[54:55], v[54:55], v[16:17], -v[68:69]
	s_waitcnt vmcnt(0)
	v_mul_f64 v[78:79], v[66:67], v[30:31]
	v_mul_f64 v[80:81], v[64:65], v[30:31]
	v_fma_f64 v[56:57], v[56:57], v[20:21], v[70:71]
	v_fma_f64 v[58:59], v[58:59], v[20:21], -v[72:73]
	v_fma_f64 v[60:61], v[60:61], v[24:25], v[74:75]
	v_fma_f64 v[62:63], v[62:63], v[24:25], -v[76:77]
	;; [unrolled: 2-line block ×3, first 2 shown]
	ds_write_b128 v143, v[36:39]
	ds_write_b128 v143, v[40:43] offset:2112
	ds_write_b128 v143, v[44:47] offset:4224
	ds_write_b128 v143, v[48:51] offset:6336
	ds_write_b128 v143, v[52:55] offset:768
	ds_write_b128 v143, v[56:59] offset:2880
	ds_write_b128 v143, v[60:63] offset:4992
	ds_write_b128 v143, v[64:67] offset:7104
	s_and_saveexec_b64 s[14:15], vcc
	s_cbranch_execz .LBB0_3
; %bb.2:
	v_mov_b32_e32 v36, s1
	v_add_co_u32_e64 v38, s[0:1], s0, v34
	v_addc_co_u32_e64 v39, s[0:1], v35, v36, s[0:1]
	v_mov_b32_e32 v56, s17
	v_add_co_u32_e64 v50, s[0:1], s16, v38
	v_addc_co_u32_e64 v51, s[0:1], v39, v56, s[0:1]
	global_load_dwordx4 v[34:37], v[38:39], off
	v_add_co_u32_e64 v54, s[0:1], s16, v50
	global_load_dwordx4 v[38:41], v[50:51], off
	global_load_dwordx4 v[42:45], v[140:141], off offset:1536
	global_load_dwordx4 v[46:49], v[140:141], off offset:3648
	v_addc_co_u32_e64 v55, s[0:1], v51, v56, s[0:1]
	global_load_dwordx4 v[50:53], v[54:55], off
	v_add_co_u32_e64 v66, s[0:1], s16, v54
	v_addc_co_u32_e64 v67, s[0:1], v55, v56, s[0:1]
	global_load_dwordx4 v[54:57], v[32:33], off offset:1664
	global_load_dwordx4 v[58:61], v[32:33], off offset:3776
	global_load_dwordx4 v[62:65], v[66:67], off
	s_waitcnt vmcnt(5)
	v_mul_f64 v[32:33], v[36:37], v[44:45]
	v_mul_f64 v[44:45], v[34:35], v[44:45]
	s_waitcnt vmcnt(4)
	v_mul_f64 v[66:67], v[40:41], v[48:49]
	v_mul_f64 v[48:49], v[38:39], v[48:49]
	;; [unrolled: 3-line block ×4, first 2 shown]
	v_fma_f64 v[32:33], v[34:35], v[42:43], v[32:33]
	v_fma_f64 v[34:35], v[36:37], v[42:43], -v[44:45]
	v_fma_f64 v[36:37], v[38:39], v[46:47], v[66:67]
	v_fma_f64 v[38:39], v[40:41], v[46:47], -v[48:49]
	;; [unrolled: 2-line block ×4, first 2 shown]
	ds_write_b128 v143, v[32:35] offset:1536
	ds_write_b128 v143, v[36:39] offset:3648
	;; [unrolled: 1-line block ×4, first 2 shown]
.LBB0_3:
	s_or_b64 exec, exec, s[14:15]
	s_waitcnt lgkmcnt(0)
	; wave barrier
	s_waitcnt lgkmcnt(0)
	ds_read_b128 v[64:67], v143
	ds_read_b128 v[32:35], v143 offset:768
	ds_read_b128 v[68:71], v143 offset:2112
	;; [unrolled: 1-line block ×7, first 2 shown]
                                        ; implicit-def: $vgpr40_vgpr41
                                        ; implicit-def: $vgpr56_vgpr57
                                        ; implicit-def: $vgpr48_vgpr49
                                        ; implicit-def: $vgpr44_vgpr45
	s_and_saveexec_b64 s[0:1], vcc
	s_cbranch_execz .LBB0_5
; %bb.4:
	ds_read_b128 v[40:43], v143 offset:1536
	ds_read_b128 v[44:47], v143 offset:3648
	;; [unrolled: 1-line block ×4, first 2 shown]
.LBB0_5:
	s_or_b64 exec, exec, s[0:1]
	s_waitcnt lgkmcnt(3)
	v_add_f64 v[76:77], v[64:65], -v[76:77]
	s_waitcnt lgkmcnt(1)
	v_add_f64 v[72:73], v[68:69], -v[72:73]
	v_add_f64 v[78:79], v[66:67], -v[78:79]
	;; [unrolled: 1-line block ×5, first 2 shown]
	s_waitcnt lgkmcnt(0)
	v_add_f64 v[52:53], v[36:37], -v[52:53]
	v_add_f64 v[54:55], v[38:39], -v[54:55]
	v_fma_f64 v[80:81], v[64:65], 2.0, -v[76:77]
	v_fma_f64 v[64:65], v[68:69], 2.0, -v[72:73]
	;; [unrolled: 1-line block ×4, first 2 shown]
	v_add_f64 v[88:89], v[40:41], -v[48:49]
	s_load_dwordx2 s[14:15], s[4:5], 0x8
	v_fma_f64 v[36:37], v[36:37], 2.0, -v[52:53]
	v_fma_f64 v[38:39], v[38:39], 2.0, -v[54:55]
	v_add_co_u32_e64 v100, s[0:1], 48, v144
	v_add_f64 v[60:61], v[80:81], -v[64:65]
	v_add_f64 v[62:63], v[82:83], -v[66:67]
	v_add_f64 v[66:67], v[78:79], v[72:73]
	v_add_f64 v[72:73], v[44:45], -v[56:57]
	v_add_f64 v[56:57], v[46:47], -v[58:59]
	;; [unrolled: 1-line block ×3, first 2 shown]
	v_fma_f64 v[74:75], v[32:33], 2.0, -v[84:85]
	v_fma_f64 v[90:91], v[40:41], 2.0, -v[88:89]
	v_fma_f64 v[68:69], v[80:81], 2.0, -v[60:61]
	v_add_f64 v[80:81], v[42:43], -v[50:51]
	v_fma_f64 v[70:71], v[82:83], 2.0, -v[62:63]
	v_fma_f64 v[82:83], v[34:35], 2.0, -v[86:87]
	;; [unrolled: 1-line block ×4, first 2 shown]
	v_add_f64 v[36:37], v[74:75], -v[36:37]
	v_add_f64 v[56:57], v[88:89], -v[56:57]
	;; [unrolled: 1-line block ×3, first 2 shown]
	v_fma_f64 v[92:93], v[42:43], 2.0, -v[80:81]
	v_add_f64 v[58:59], v[80:81], v[72:73]
	v_add_f64 v[38:39], v[82:83], -v[38:39]
	v_add_f64 v[48:49], v[90:91], -v[44:45]
	v_add_f64 v[42:43], v[86:87], v[52:53]
	v_fma_f64 v[72:73], v[74:75], 2.0, -v[36:37]
	v_fma_f64 v[52:53], v[88:89], 2.0, -v[56:57]
	;; [unrolled: 1-line block ×3, first 2 shown]
	v_add_f64 v[50:51], v[92:93], -v[46:47]
	v_fma_f64 v[54:55], v[80:81], 2.0, -v[58:59]
	v_fma_f64 v[74:75], v[82:83], 2.0, -v[38:39]
	;; [unrolled: 1-line block ×6, first 2 shown]
	s_movk_i32 s0, 0x60
	v_fma_f64 v[46:47], v[92:93], 2.0, -v[50:51]
	v_add_co_u32_e64 v101, s[0:1], s0, v144
	v_lshlrev_b32_e32 v93, 2, v144
	v_lshlrev_b32_e32 v148, 6, v144
	;; [unrolled: 1-line block ×5, first 2 shown]
	s_waitcnt lgkmcnt(0)
	; wave barrier
	s_waitcnt lgkmcnt(0)
	ds_write_b128 v148, v[68:71]
	ds_write_b128 v148, v[32:35] offset:16
	ds_write_b128 v148, v[60:63] offset:32
	ds_write_b128 v148, v[64:67] offset:48
	ds_write_b128 v149, v[72:75]
	ds_write_b128 v149, v[76:79] offset:16
	ds_write_b128 v149, v[36:39] offset:32
	;; [unrolled: 1-line block ×3, first 2 shown]
	s_and_saveexec_b64 s[0:1], vcc
	s_cbranch_execz .LBB0_7
; %bb.6:
	ds_write_b128 v147, v[44:47]
	ds_write_b128 v147, v[52:55] offset:16
	ds_write_b128 v147, v[48:51] offset:32
	;; [unrolled: 1-line block ×3, first 2 shown]
.LBB0_7:
	s_or_b64 exec, exec, s[0:1]
	s_waitcnt lgkmcnt(0)
	; wave barrier
	s_waitcnt lgkmcnt(0)
	ds_read_b128 v[64:67], v143
	ds_read_b128 v[60:63], v143 offset:768
	ds_read_b128 v[88:91], v143 offset:2112
	;; [unrolled: 1-line block ×7, first 2 shown]
	s_and_saveexec_b64 s[0:1], vcc
	s_cbranch_execz .LBB0_9
; %bb.8:
	ds_read_b128 v[44:47], v143 offset:1536
	ds_read_b128 v[52:55], v143 offset:3648
	;; [unrolled: 1-line block ×4, first 2 shown]
.LBB0_9:
	s_or_b64 exec, exec, s[0:1]
	v_and_b32_e32 v145, 3, v144
	v_mad_u64_u32 v[94:95], s[0:1], v145, 48, s[14:15]
	s_movk_i32 s0, 0xf0
	v_and_or_b32 v93, v93, s0, v145
	global_load_dwordx4 v[32:35], v[94:95], off offset:32
	global_load_dwordx4 v[36:39], v[94:95], off offset:16
	global_load_dwordx4 v[40:43], v[94:95], off
	v_lshlrev_b32_e32 v150, 4, v93
	s_movk_i32 s0, 0x1f0
	s_waitcnt lgkmcnt(0)
	; wave barrier
	s_waitcnt lgkmcnt(0)
	v_lshlrev_b32_e32 v152, 2, v101
	s_waitcnt vmcnt(0)
	v_mul_f64 v[94:95], v[90:91], v[42:43]
	v_fma_f64 v[94:95], v[88:89], v[40:41], -v[94:95]
	v_mul_f64 v[88:89], v[88:89], v[42:43]
	v_fma_f64 v[88:89], v[90:91], v[40:41], v[88:89]
	v_mul_f64 v[90:91], v[86:87], v[38:39]
	v_fma_f64 v[90:91], v[84:85], v[36:37], -v[90:91]
	v_mul_f64 v[84:85], v[84:85], v[38:39]
	v_fma_f64 v[84:85], v[86:87], v[36:37], v[84:85]
	;; [unrolled: 4-line block ×5, first 2 shown]
	v_mul_f64 v[72:73], v[70:71], v[34:35]
	v_add_f64 v[74:75], v[66:67], -v[84:85]
	v_fma_f64 v[98:99], v[68:69], v[32:33], -v[72:73]
	v_mul_f64 v[68:69], v[68:69], v[34:35]
	v_fma_f64 v[66:67], v[66:67], 2.0, -v[74:75]
	v_fma_f64 v[102:103], v[70:71], v[32:33], v[68:69]
	v_mul_f64 v[68:69], v[54:55], v[42:43]
	v_add_f64 v[70:71], v[94:95], -v[86:87]
	v_add_f64 v[86:87], v[82:83], -v[98:99]
	;; [unrolled: 1-line block ×3, first 2 shown]
	v_fma_f64 v[104:105], v[52:53], v[40:41], -v[68:69]
	v_mul_f64 v[52:53], v[52:53], v[42:43]
	v_add_f64 v[68:69], v[88:89], -v[80:81]
	v_fma_f64 v[80:81], v[76:77], 2.0, -v[84:85]
	v_fma_f64 v[52:53], v[54:55], v[40:41], v[52:53]
	v_mul_f64 v[54:55], v[50:51], v[38:39]
	v_fma_f64 v[54:55], v[48:49], v[36:37], -v[54:55]
	v_mul_f64 v[48:49], v[48:49], v[38:39]
	v_add_f64 v[54:55], v[44:45], -v[54:55]
	v_fma_f64 v[106:107], v[50:51], v[36:37], v[48:49]
	v_mul_f64 v[48:49], v[58:59], v[34:35]
	v_fma_f64 v[50:51], v[88:89], 2.0, -v[68:69]
	v_fma_f64 v[44:45], v[44:45], 2.0, -v[54:55]
	v_fma_f64 v[108:109], v[56:57], v[32:33], -v[48:49]
	v_mul_f64 v[48:49], v[56:57], v[34:35]
	v_add_f64 v[50:51], v[66:67], -v[50:51]
	v_fma_f64 v[56:57], v[58:59], v[32:33], v[48:49]
	v_add_f64 v[58:59], v[64:65], -v[90:91]
	v_add_f64 v[90:91], v[62:63], -v[96:97]
	v_fma_f64 v[48:49], v[94:95], 2.0, -v[70:71]
	v_add_f64 v[94:95], v[46:47], -v[106:107]
	v_add_f64 v[70:71], v[74:75], v[70:71]
	v_fma_f64 v[66:67], v[66:67], 2.0, -v[50:51]
	v_add_f64 v[68:69], v[58:59], -v[68:69]
	v_fma_f64 v[64:65], v[64:65], 2.0, -v[58:59]
	v_fma_f64 v[62:63], v[62:63], 2.0, -v[90:91]
	;; [unrolled: 1-line block ×5, first 2 shown]
	v_add_f64 v[58:59], v[60:61], -v[78:79]
	v_fma_f64 v[78:79], v[82:83], 2.0, -v[86:87]
	v_add_f64 v[48:49], v[64:65], -v[48:49]
	v_add_f64 v[86:87], v[90:91], v[86:87]
	v_fma_f64 v[60:61], v[60:61], 2.0, -v[58:59]
	v_add_f64 v[84:85], v[58:59], -v[84:85]
	v_fma_f64 v[64:65], v[64:65], 2.0, -v[48:49]
	v_fma_f64 v[90:91], v[90:91], 2.0, -v[86:87]
	ds_write_b128 v150, v[64:67]
	ds_write_b128 v150, v[72:75] offset:64
	ds_write_b128 v150, v[48:51] offset:128
	;; [unrolled: 1-line block ×3, first 2 shown]
	v_add_f64 v[76:77], v[60:61], -v[78:79]
	v_add_f64 v[78:79], v[62:63], -v[80:81]
	v_fma_f64 v[88:89], v[58:59], 2.0, -v[84:85]
	v_and_or_b32 v48, v92, s0, v145
	v_lshlrev_b32_e32 v151, 4, v48
	v_fma_f64 v[80:81], v[60:61], 2.0, -v[76:77]
	v_fma_f64 v[82:83], v[62:63], 2.0, -v[78:79]
	v_add_f64 v[62:63], v[104:105], -v[108:109]
	v_add_f64 v[60:61], v[52:53], -v[56:57]
	ds_write_b128 v151, v[80:83]
	ds_write_b128 v151, v[88:91] offset:64
	ds_write_b128 v151, v[76:79] offset:128
	;; [unrolled: 1-line block ×3, first 2 shown]
	v_fma_f64 v[56:57], v[104:105], 2.0, -v[62:63]
	v_fma_f64 v[52:53], v[52:53], 2.0, -v[60:61]
	v_add_f64 v[60:61], v[54:55], -v[60:61]
	v_add_f64 v[62:63], v[94:95], v[62:63]
	v_add_f64 v[56:57], v[44:45], -v[56:57]
	v_add_f64 v[58:59], v[46:47], -v[52:53]
	v_fma_f64 v[52:53], v[54:55], 2.0, -v[60:61]
	v_fma_f64 v[54:55], v[94:95], 2.0, -v[62:63]
	s_and_saveexec_b64 s[0:1], vcc
	s_cbranch_execz .LBB0_11
; %bb.10:
	v_fma_f64 v[46:47], v[46:47], 2.0, -v[58:59]
	v_fma_f64 v[44:45], v[44:45], 2.0, -v[56:57]
	s_movk_i32 s4, 0x3f0
	v_and_or_b32 v48, v152, s4, v145
	v_lshlrev_b32_e32 v48, 4, v48
	ds_write_b128 v48, v[52:55] offset:64
	ds_write_b128 v48, v[56:59] offset:128
	ds_write_b128 v48, v[44:47]
	ds_write_b128 v48, v[60:63] offset:192
.LBB0_11:
	s_or_b64 exec, exec, s[0:1]
	s_waitcnt lgkmcnt(0)
	; wave barrier
	s_waitcnt lgkmcnt(0)
	ds_read_b128 v[68:71], v143
	ds_read_b128 v[64:67], v143 offset:768
	ds_read_b128 v[84:87], v143 offset:5632
	;; [unrolled: 1-line block ×8, first 2 shown]
	v_cmp_gt_u16_e64 s[0:1], 32, v144
	s_and_saveexec_b64 s[4:5], s[0:1]
	s_cbranch_execz .LBB0_13
; %bb.12:
	ds_read_b128 v[52:55], v143 offset:2304
	ds_read_b128 v[56:59], v143 offset:5120
	;; [unrolled: 1-line block ×3, first 2 shown]
.LBB0_13:
	s_or_b64 exec, exec, s[4:5]
	v_and_b32_e32 v146, 15, v144
	v_lshlrev_b32_e32 v102, 5, v146
	global_load_dwordx4 v[48:51], v102, s[14:15] offset:192
	global_load_dwordx4 v[44:47], v102, s[14:15] offset:208
	v_lshrrev_b32_e32 v102, 4, v144
	v_lshrrev_b32_e32 v100, 4, v100
	;; [unrolled: 1-line block ×3, first 2 shown]
	v_mul_u32_u24_e32 v102, 48, v102
	v_mul_u32_u24_e32 v100, 48, v100
	;; [unrolled: 1-line block ×3, first 2 shown]
	v_or_b32_e32 v102, v102, v146
	v_or_b32_e32 v100, v100, v146
	;; [unrolled: 1-line block ×3, first 2 shown]
	v_lshlrev_b32_e32 v155, 4, v102
	v_lshlrev_b32_e32 v154, 4, v100
	;; [unrolled: 1-line block ×3, first 2 shown]
	s_mov_b32 s16, 0xe8584caa
	s_mov_b32 s17, 0x3febb67a
	;; [unrolled: 1-line block ×4, first 2 shown]
	s_movk_i32 s4, 0x90
	v_add_co_u32_e64 v136, s[4:5], s4, v144
	v_lshrrev_b32_e32 v156, 4, v136
	s_waitcnt lgkmcnt(0)
	; wave barrier
	s_waitcnt vmcnt(1) lgkmcnt(0)
	v_mul_f64 v[100:101], v[98:99], v[50:51]
	v_mul_f64 v[102:103], v[96:97], v[50:51]
	s_waitcnt vmcnt(0)
	v_mul_f64 v[104:105], v[86:87], v[46:47]
	v_mul_f64 v[108:109], v[94:95], v[50:51]
	;; [unrolled: 1-line block ×14, first 2 shown]
	v_fma_f64 v[96:97], v[96:97], v[48:49], -v[100:101]
	v_fma_f64 v[98:99], v[98:99], v[48:49], v[102:103]
	v_fma_f64 v[84:85], v[84:85], v[44:45], -v[104:105]
	v_fma_f64 v[92:93], v[92:93], v[48:49], -v[108:109]
	v_fma_f64 v[94:95], v[94:95], v[48:49], v[110:111]
	v_fma_f64 v[100:101], v[76:77], v[44:45], -v[112:113]
	v_fma_f64 v[102:103], v[78:79], v[44:45], v[114:115]
	v_fma_f64 v[88:89], v[88:89], v[48:49], -v[116:117]
	v_fma_f64 v[104:105], v[80:81], v[44:45], -v[120:121]
	;; [unrolled: 1-line block ×3, first 2 shown]
	v_fma_f64 v[78:79], v[58:59], v[48:49], v[126:127]
	v_fma_f64 v[56:57], v[60:61], v[44:45], -v[128:129]
	v_fma_f64 v[58:59], v[62:63], v[44:45], v[130:131]
	v_fma_f64 v[86:87], v[86:87], v[44:45], v[106:107]
	v_fma_f64 v[90:91], v[90:91], v[48:49], v[118:119]
	v_fma_f64 v[106:107], v[82:83], v[44:45], v[122:123]
	v_add_f64 v[62:63], v[68:69], v[96:97]
	v_add_f64 v[108:109], v[96:97], v[84:85]
	v_add_f64 v[112:113], v[70:71], v[98:99]
	v_add_f64 v[116:117], v[92:93], v[100:101]
	v_add_f64 v[118:119], v[94:95], -v[102:103]
	v_add_f64 v[120:121], v[66:67], v[94:95]
	v_add_f64 v[94:95], v[94:95], v[102:103]
	;; [unrolled: 1-line block ×5, first 2 shown]
	v_add_f64 v[110:111], v[98:99], -v[86:87]
	v_add_f64 v[98:99], v[98:99], v[86:87]
	v_add_f64 v[126:127], v[90:91], -v[106:107]
	v_add_f64 v[128:129], v[74:75], v[90:91]
	v_add_f64 v[90:91], v[90:91], v[106:107]
	v_add_f64 v[114:115], v[96:97], -v[84:85]
	v_add_f64 v[96:97], v[64:65], v[92:93]
	v_add_f64 v[92:93], v[92:93], -v[100:101]
	;; [unrolled: 2-line block ×3, first 2 shown]
	v_add_f64 v[80:81], v[76:77], -v[56:57]
	v_add_f64 v[82:83], v[62:63], v[84:85]
	v_fma_f64 v[108:109], v[108:109], -0.5, v[68:69]
	v_add_f64 v[84:85], v[112:113], v[86:87]
	v_fma_f64 v[112:113], v[116:117], -0.5, v[64:65]
	v_fma_f64 v[66:67], v[94:95], -0.5, v[66:67]
	;; [unrolled: 1-line block ×6, first 2 shown]
	v_add_f64 v[130:131], v[88:89], -v[104:105]
	v_fma_f64 v[90:91], v[90:91], -0.5, v[74:75]
	v_add_f64 v[68:69], v[96:97], v[100:101]
	v_add_f64 v[70:71], v[120:121], v[102:103]
	;; [unrolled: 1-line block ×4, first 2 shown]
	v_fma_f64 v[72:73], v[110:111], s[16:17], v[108:109]
	v_fma_f64 v[96:97], v[110:111], s[18:19], v[108:109]
	;; [unrolled: 1-line block ×14, first 2 shown]
	ds_write_b128 v155, v[82:85]
	ds_write_b128 v155, v[72:75] offset:256
	ds_write_b128 v155, v[96:99] offset:512
	ds_write_b128 v154, v[68:71]
	ds_write_b128 v154, v[100:103] offset:256
	ds_write_b128 v154, v[104:107] offset:512
	;; [unrolled: 3-line block ×3, first 2 shown]
	s_and_saveexec_b64 s[4:5], s[0:1]
	s_cbranch_execz .LBB0_15
; %bb.14:
	v_add_f64 v[68:69], v[54:55], v[78:79]
	v_add_f64 v[52:53], v[52:53], v[76:77]
	v_mul_f64 v[66:67], v[80:81], s[16:17]
	v_mul_f64 v[60:61], v[60:61], s[16:17]
	v_add_f64 v[58:59], v[68:69], v[58:59]
	v_add_f64 v[56:57], v[52:53], v[56:57]
	v_add_f64 v[54:55], v[64:65], -v[66:67]
	v_add_f64 v[52:53], v[60:61], v[62:63]
	v_mul_u32_u24_e32 v60, 48, v156
	v_or_b32_e32 v60, v60, v146
	v_lshlrev_b32_e32 v60, 4, v60
	ds_write_b128 v60, v[56:59]
	ds_write_b128 v60, v[52:55] offset:256
	ds_write_b128 v60, v[92:95] offset:512
.LBB0_15:
	s_or_b64 exec, exec, s[4:5]
	v_mov_b32_e32 v53, s15
	s_movk_i32 s4, 0xa0
	v_mov_b32_e32 v52, s14
	v_mad_u64_u32 v[96:97], s[4:5], v144, s4, v[52:53]
	s_waitcnt lgkmcnt(0)
	; wave barrier
	s_waitcnt lgkmcnt(0)
	global_load_dwordx4 v[88:91], v[96:97], off offset:704
	global_load_dwordx4 v[84:87], v[96:97], off offset:720
	;; [unrolled: 1-line block ×10, first 2 shown]
	v_mov_b32_e32 v108, s13
	ds_read_b128 v[96:99], v143
	ds_read_b128 v[100:103], v143 offset:768
	ds_read_b128 v[104:107], v143 offset:1536
	;; [unrolled: 1-line block ×10, first 2 shown]
	v_addc_co_u32_e64 v110, s[2:3], 0, v108, s[2:3]
	s_mov_b32 s26, 0xf8bb580b
	s_mov_b32 s27, 0xbfe14ced
	;; [unrolled: 1-line block ×26, first 2 shown]
	s_waitcnt vmcnt(9) lgkmcnt(9)
	v_mul_f64 v[108:109], v[102:103], v[90:91]
	v_mul_f64 v[161:162], v[100:101], v[90:91]
	s_waitcnt vmcnt(8) lgkmcnt(8)
	v_mul_f64 v[163:164], v[106:107], v[86:87]
	s_waitcnt vmcnt(7) lgkmcnt(7)
	v_mul_f64 v[167:168], v[113:114], v[66:67]
	v_mul_f64 v[165:166], v[104:105], v[86:87]
	;; [unrolled: 1-line block ×3, first 2 shown]
	s_waitcnt vmcnt(6) lgkmcnt(6)
	v_mul_f64 v[171:172], v[117:118], v[58:59]
	v_mul_f64 v[173:174], v[115:116], v[58:59]
	s_waitcnt vmcnt(1) lgkmcnt(1)
	v_mul_f64 v[191:192], v[137:138], v[74:75]
	s_waitcnt vmcnt(0) lgkmcnt(0)
	v_mul_f64 v[195:196], v[159:160], v[78:79]
	v_fma_f64 v[100:101], v[100:101], v[88:89], -v[108:109]
	v_mul_f64 v[193:194], v[135:136], v[74:75]
	v_mul_f64 v[197:198], v[157:158], v[78:79]
	v_fma_f64 v[102:103], v[102:103], v[88:89], v[161:162]
	v_fma_f64 v[104:105], v[104:105], v[84:85], -v[163:164]
	v_fma_f64 v[108:109], v[111:112], v[64:65], -v[167:168]
	;; [unrolled: 1-line block ×4, first 2 shown]
	v_add_f64 v[157:158], v[96:97], v[100:101]
	v_fma_f64 v[106:107], v[106:107], v[84:85], v[165:166]
	v_fma_f64 v[161:162], v[113:114], v[64:65], v[169:170]
	v_fma_f64 v[115:116], v[115:116], v[56:57], -v[171:172]
	v_fma_f64 v[113:114], v[159:160], v[76:77], v[197:198]
	v_fma_f64 v[137:138], v[137:138], v[72:73], v[193:194]
	v_add_f64 v[159:160], v[98:99], v[102:103]
	v_add_f64 v[167:168], v[104:105], v[135:136]
	v_add_f64 v[171:172], v[104:105], -v[135:136]
	v_add_f64 v[104:105], v[157:158], v[104:105]
	v_mul_f64 v[175:176], v[121:122], v[82:83]
	v_fma_f64 v[117:118], v[117:118], v[56:57], v[173:174]
	v_mul_f64 v[177:178], v[119:120], v[82:83]
	v_add_f64 v[169:170], v[106:107], v[137:138]
	v_add_f64 v[173:174], v[106:107], -v[137:138]
	v_add_f64 v[106:107], v[159:160], v[106:107]
	v_mul_f64 v[179:180], v[125:126], v[70:71]
	v_add_f64 v[104:105], v[104:105], v[108:109]
	v_fma_f64 v[119:120], v[119:120], v[80:81], -v[175:176]
	v_mul_f64 v[181:182], v[123:124], v[70:71]
	v_mul_f64 v[183:184], v[129:130], v[62:63]
	v_fma_f64 v[121:122], v[121:122], v[80:81], v[177:178]
	v_mul_f64 v[185:186], v[127:128], v[62:63]
	v_add_f64 v[106:107], v[106:107], v[161:162]
	v_fma_f64 v[123:124], v[123:124], v[68:69], -v[179:180]
	v_add_f64 v[104:105], v[104:105], v[115:116]
	v_mul_f64 v[187:188], v[133:134], v[54:55]
	v_fma_f64 v[125:126], v[125:126], v[68:69], v[181:182]
	v_fma_f64 v[127:128], v[127:128], v[60:61], -v[183:184]
	v_mul_f64 v[189:190], v[131:132], v[54:55]
	v_fma_f64 v[129:130], v[129:130], v[60:61], v[185:186]
	v_add_f64 v[106:107], v[106:107], v[117:118]
	v_add_f64 v[163:164], v[100:101], v[111:112]
	;; [unrolled: 1-line block ×3, first 2 shown]
	v_fma_f64 v[131:132], v[131:132], v[52:53], -v[187:188]
	v_add_f64 v[165:166], v[102:103], v[113:114]
	v_add_f64 v[102:103], v[102:103], -v[113:114]
	v_add_f64 v[100:101], v[100:101], -v[111:112]
	v_fma_f64 v[133:134], v[133:134], v[52:53], v[189:190]
	v_add_f64 v[106:107], v[106:107], v[121:122]
	v_mul_f64 v[187:188], v[173:174], s[16:17]
	v_add_f64 v[104:105], v[104:105], v[123:124]
	v_mul_f64 v[189:190], v[171:172], s[16:17]
	v_mul_f64 v[191:192], v[173:174], s[22:23]
	;; [unrolled: 1-line block ×5, first 2 shown]
	v_add_f64 v[106:107], v[106:107], v[125:126]
	v_mul_f64 v[177:178], v[100:101], s[16:17]
	v_add_f64 v[104:105], v[104:105], v[127:128]
	v_mul_f64 v[179:180], v[102:103], s[14:15]
	v_mul_f64 v[181:182], v[100:101], s[14:15]
	;; [unrolled: 1-line block ×5, first 2 shown]
	v_add_f64 v[106:107], v[106:107], v[129:130]
	v_mul_f64 v[100:101], v[100:101], s[28:29]
	v_add_f64 v[104:105], v[104:105], v[131:132]
	v_fma_f64 v[193:194], v[163:164], s[18:19], -v[157:158]
	v_fma_f64 v[195:196], v[165:166], s[18:19], v[159:160]
	v_fma_f64 v[157:158], v[163:164], s[18:19], v[157:158]
	v_fma_f64 v[159:160], v[165:166], s[18:19], -v[159:160]
	v_fma_f64 v[197:198], v[163:164], s[4:5], -v[175:176]
	v_add_f64 v[106:107], v[106:107], v[133:134]
	v_fma_f64 v[199:200], v[165:166], s[4:5], v[177:178]
	v_add_f64 v[104:105], v[104:105], v[135:136]
	v_fma_f64 v[175:176], v[163:164], s[4:5], v[175:176]
	v_fma_f64 v[177:178], v[165:166], s[4:5], -v[177:178]
	v_fma_f64 v[201:202], v[163:164], s[12:13], -v[179:180]
	v_fma_f64 v[203:204], v[165:166], s[12:13], v[181:182]
	v_fma_f64 v[179:180], v[163:164], s[12:13], v[179:180]
	v_fma_f64 v[181:182], v[165:166], s[12:13], -v[181:182]
	v_fma_f64 v[205:206], v[163:164], s[20:21], -v[183:184]
	v_fma_f64 v[207:208], v[165:166], s[20:21], v[185:186]
	;; [unrolled: 4-line block ×4, first 2 shown]
	v_fma_f64 v[187:188], v[167:168], s[4:5], v[187:188]
	v_add_f64 v[193:194], v[96:97], v[193:194]
	v_add_f64 v[195:196], v[98:99], v[195:196]
	;; [unrolled: 1-line block ×5, first 2 shown]
	v_mul_f64 v[104:105], v[171:172], s[22:23]
	v_add_f64 v[159:160], v[98:99], v[159:160]
	v_add_f64 v[197:198], v[96:97], v[197:198]
	v_add_f64 v[199:200], v[98:99], v[199:200]
	v_add_f64 v[175:176], v[96:97], v[175:176]
	v_add_f64 v[177:178], v[98:99], v[177:178]
	v_add_f64 v[201:202], v[96:97], v[201:202]
	v_add_f64 v[203:204], v[98:99], v[203:204]
	v_add_f64 v[179:180], v[96:97], v[179:180]
	v_add_f64 v[181:182], v[98:99], v[181:182]
	v_add_f64 v[135:136], v[96:97], v[205:206]
	v_add_f64 v[137:138], v[98:99], v[207:208]
	v_add_f64 v[183:184], v[96:97], v[183:184]
	v_add_f64 v[185:186], v[98:99], v[185:186]
	v_add_f64 v[205:206], v[96:97], v[209:210]
	v_add_f64 v[207:208], v[98:99], v[211:212]
	v_add_f64 v[113:114], v[106:107], v[113:114]
	v_add_f64 v[96:97], v[96:97], v[102:103]
	v_add_f64 v[98:99], v[98:99], v[100:101]
	v_add_f64 v[100:101], v[163:164], v[193:194]
	v_add_f64 v[102:103], v[165:166], v[195:196]
	v_add_f64 v[106:107], v[187:188], v[157:158]
	v_fma_f64 v[163:164], v[169:170], s[20:21], v[104:105]
	v_mul_f64 v[165:166], v[173:174], s[34:35]
	v_mul_f64 v[187:188], v[171:172], s[34:35]
	v_fma_f64 v[189:190], v[169:170], s[4:5], -v[189:190]
	v_fma_f64 v[213:214], v[167:168], s[20:21], -v[191:192]
	v_fma_f64 v[191:192], v[167:168], s[20:21], v[191:192]
	v_fma_f64 v[104:105], v[169:170], s[20:21], -v[104:105]
	s_mov_b32 s17, 0x3fed1bb4
	v_add_f64 v[163:164], v[163:164], v[199:200]
	v_fma_f64 v[193:194], v[167:168], s[24:25], -v[165:166]
	v_fma_f64 v[195:196], v[169:170], s[24:25], v[187:188]
	v_fma_f64 v[165:166], v[167:168], s[24:25], v[165:166]
	v_fma_f64 v[187:188], v[169:170], s[24:25], -v[187:188]
	v_mul_f64 v[199:200], v[171:172], s[30:31]
	v_add_f64 v[157:158], v[189:190], v[159:160]
	v_mul_f64 v[189:190], v[173:174], s[30:31]
	v_add_f64 v[159:160], v[213:214], v[197:198]
	v_mul_f64 v[173:174], v[173:174], s[2:3]
	v_mul_f64 v[171:172], v[171:172], s[2:3]
	v_add_f64 v[165:166], v[165:166], v[179:180]
	v_add_f64 v[179:180], v[187:188], v[181:182]
	v_fma_f64 v[181:182], v[169:170], s[12:13], v[199:200]
	v_add_f64 v[175:176], v[191:192], v[175:176]
	v_fma_f64 v[197:198], v[167:168], s[12:13], -v[189:190]
	v_fma_f64 v[187:188], v[167:168], s[12:13], v[189:190]
	v_add_f64 v[189:190], v[161:162], -v[133:134]
	v_add_f64 v[104:105], v[104:105], v[177:178]
	v_add_f64 v[177:178], v[193:194], v[201:202]
	;; [unrolled: 1-line block ×4, first 2 shown]
	v_add_f64 v[181:182], v[108:109], -v[131:132]
	v_fma_f64 v[193:194], v[169:170], s[12:13], -v[199:200]
	v_add_f64 v[183:184], v[187:188], v[183:184]
	v_add_f64 v[108:109], v[108:109], v[131:132]
	v_mul_f64 v[131:132], v[189:190], s[14:15]
	v_fma_f64 v[187:188], v[167:168], s[18:19], -v[173:174]
	v_fma_f64 v[195:196], v[169:170], s[18:19], v[171:172]
	v_add_f64 v[133:134], v[161:162], v[133:134]
	v_mul_f64 v[161:162], v[181:182], s[14:15]
	v_add_f64 v[135:136], v[197:198], v[135:136]
	v_add_f64 v[185:186], v[193:194], v[185:186]
	v_fma_f64 v[167:168], v[167:168], s[18:19], v[173:174]
	v_fma_f64 v[169:170], v[169:170], s[18:19], -v[171:172]
	v_fma_f64 v[171:172], v[108:109], s[12:13], -v[131:132]
	v_add_f64 v[173:174], v[187:188], v[205:206]
	v_add_f64 v[187:188], v[195:196], v[207:208]
	v_mul_f64 v[193:194], v[189:190], s[34:35]
	v_mul_f64 v[195:196], v[181:182], s[34:35]
	v_fma_f64 v[197:198], v[133:134], s[12:13], v[161:162]
	v_add_f64 v[96:97], v[167:168], v[96:97]
	v_add_f64 v[98:99], v[169:170], v[98:99]
	;; [unrolled: 1-line block ×3, first 2 shown]
	v_fma_f64 v[131:132], v[108:109], s[12:13], v[131:132]
	v_fma_f64 v[161:162], v[133:134], s[12:13], -v[161:162]
	v_fma_f64 v[167:168], v[108:109], s[24:25], -v[193:194]
	v_fma_f64 v[169:170], v[133:134], s[24:25], v[195:196]
	v_add_f64 v[102:103], v[197:198], v[102:103]
	v_mul_f64 v[171:172], v[189:190], s[16:17]
	v_mul_f64 v[197:198], v[181:182], s[16:17]
	v_add_f64 v[106:107], v[131:132], v[106:107]
	v_add_f64 v[131:132], v[161:162], v[157:158]
	;; [unrolled: 1-line block ×4, first 2 shown]
	v_fma_f64 v[161:162], v[108:109], s[24:25], v[193:194]
	v_fma_f64 v[163:164], v[133:134], s[24:25], -v[195:196]
	v_fma_f64 v[167:168], v[108:109], s[4:5], -v[171:172]
	v_fma_f64 v[169:170], v[133:134], s[4:5], v[197:198]
	v_mul_f64 v[193:194], v[189:190], s[26:27]
	v_mul_f64 v[195:196], v[181:182], s[26:27]
	v_fma_f64 v[171:172], v[108:109], s[4:5], v[171:172]
	v_fma_f64 v[197:198], v[133:134], s[4:5], -v[197:198]
	v_add_f64 v[161:162], v[161:162], v[175:176]
	v_add_f64 v[104:105], v[163:164], v[104:105]
	;; [unrolled: 1-line block ×4, first 2 shown]
	v_fma_f64 v[169:170], v[108:109], s[18:19], -v[193:194]
	v_fma_f64 v[175:176], v[133:134], s[18:19], v[195:196]
	v_add_f64 v[165:166], v[171:172], v[165:166]
	v_add_f64 v[171:172], v[197:198], v[179:180]
	v_mul_f64 v[179:180], v[181:182], s[22:23]
	v_mul_f64 v[177:178], v[189:190], s[22:23]
	v_fma_f64 v[181:182], v[108:109], s[18:19], v[193:194]
	v_fma_f64 v[189:190], v[133:134], s[18:19], -v[195:196]
	v_add_f64 v[135:136], v[169:170], v[135:136]
	v_add_f64 v[137:138], v[175:176], v[137:138]
	v_add_f64 v[169:170], v[117:118], -v[129:130]
	v_add_f64 v[175:176], v[115:116], -v[127:128]
	v_fma_f64 v[193:194], v[133:134], s[20:21], v[179:180]
	v_add_f64 v[115:116], v[115:116], v[127:128]
	v_add_f64 v[117:118], v[117:118], v[129:130]
	;; [unrolled: 1-line block ×4, first 2 shown]
	v_fma_f64 v[191:192], v[108:109], s[20:21], -v[177:178]
	v_mul_f64 v[127:128], v[169:170], s[22:23]
	v_mul_f64 v[129:130], v[175:176], s[22:23]
	v_add_f64 v[185:186], v[193:194], v[187:188]
	v_fma_f64 v[108:109], v[108:109], s[20:21], v[177:178]
	v_fma_f64 v[133:134], v[133:134], s[20:21], -v[179:180]
	v_mul_f64 v[177:178], v[169:170], s[30:31]
	v_mul_f64 v[179:180], v[175:176], s[30:31]
	v_add_f64 v[173:174], v[191:192], v[173:174]
	v_fma_f64 v[187:188], v[115:116], s[20:21], -v[127:128]
	v_fma_f64 v[189:190], v[117:118], s[20:21], v[129:130]
	v_fma_f64 v[127:128], v[115:116], s[20:21], v[127:128]
	v_fma_f64 v[129:130], v[117:118], s[20:21], -v[129:130]
	v_add_f64 v[96:97], v[108:109], v[96:97]
	v_add_f64 v[98:99], v[133:134], v[98:99]
	v_fma_f64 v[108:109], v[115:116], s[12:13], -v[177:178]
	v_fma_f64 v[133:134], v[117:118], s[12:13], v[179:180]
	v_add_f64 v[100:101], v[187:188], v[100:101]
	v_add_f64 v[102:103], v[189:190], v[102:103]
	;; [unrolled: 1-line block ×4, first 2 shown]
	v_mul_f64 v[129:130], v[169:170], s[26:27]
	v_mul_f64 v[131:132], v[175:176], s[26:27]
	v_add_f64 v[108:109], v[108:109], v[157:158]
	v_add_f64 v[133:134], v[133:134], v[159:160]
	v_mul_f64 v[157:158], v[169:170], s[28:29]
	v_mul_f64 v[159:160], v[175:176], s[28:29]
	v_fma_f64 v[177:178], v[115:116], s[12:13], v[177:178]
	v_fma_f64 v[179:180], v[117:118], s[12:13], -v[179:180]
	v_fma_f64 v[187:188], v[115:116], s[18:19], -v[129:130]
	v_fma_f64 v[129:130], v[115:116], s[18:19], v[129:130]
	v_fma_f64 v[189:190], v[117:118], s[18:19], v[131:132]
	v_fma_f64 v[131:132], v[117:118], s[18:19], -v[131:132]
	v_mul_f64 v[169:170], v[169:170], s[16:17]
	v_mul_f64 v[175:176], v[175:176], s[16:17]
	v_fma_f64 v[191:192], v[115:116], s[24:25], -v[157:158]
	v_fma_f64 v[193:194], v[117:118], s[24:25], v[159:160]
	v_add_f64 v[161:162], v[177:178], v[161:162]
	v_add_f64 v[129:130], v[129:130], v[165:166]
	v_add_f64 v[165:166], v[121:122], -v[125:126]
	v_add_f64 v[131:132], v[131:132], v[171:172]
	v_add_f64 v[171:172], v[119:120], -v[123:124]
	v_fma_f64 v[157:158], v[115:116], s[24:25], v[157:158]
	v_fma_f64 v[159:160], v[117:118], s[24:25], -v[159:160]
	v_add_f64 v[177:178], v[119:120], v[123:124]
	v_add_f64 v[104:105], v[179:180], v[104:105]
	;; [unrolled: 1-line block ×3, first 2 shown]
	v_mul_f64 v[119:120], v[165:166], s[28:29]
	v_fma_f64 v[123:124], v[115:116], s[4:5], -v[169:170]
	v_mul_f64 v[121:122], v[171:172], s[28:29]
	v_fma_f64 v[125:126], v[117:118], s[4:5], v[175:176]
	v_add_f64 v[157:158], v[157:158], v[181:182]
	v_add_f64 v[181:182], v[159:160], v[183:184]
	v_fma_f64 v[115:116], v[115:116], s[4:5], v[169:170]
	v_fma_f64 v[117:118], v[117:118], s[4:5], -v[175:176]
	v_fma_f64 v[159:160], v[177:178], s[24:25], -v[119:120]
	v_add_f64 v[173:174], v[123:124], v[173:174]
	v_fma_f64 v[169:170], v[179:180], s[24:25], v[121:122]
	v_add_f64 v[175:176], v[125:126], v[185:186]
	v_mul_f64 v[123:124], v[165:166], s[2:3]
	v_mul_f64 v[125:126], v[171:172], s[2:3]
	v_add_f64 v[183:184], v[115:116], v[96:97]
	v_fma_f64 v[96:97], v[177:178], s[24:25], v[119:120]
	v_add_f64 v[115:116], v[159:160], v[100:101]
	v_mul_f64 v[159:160], v[165:166], s[22:23]
	v_add_f64 v[185:186], v[117:118], v[98:99]
	v_add_f64 v[117:118], v[169:170], v[102:103]
	v_fma_f64 v[98:99], v[179:180], s[24:25], -v[121:122]
	v_fma_f64 v[119:120], v[177:178], s[18:19], -v[123:124]
	v_fma_f64 v[121:122], v[179:180], s[18:19], v[125:126]
	v_fma_f64 v[125:126], v[179:180], s[18:19], -v[125:126]
	v_mul_f64 v[169:170], v[171:172], s[22:23]
	v_add_f64 v[163:164], v[187:188], v[163:164]
	v_fma_f64 v[123:124], v[177:178], s[18:19], v[123:124]
	v_add_f64 v[100:101], v[96:97], v[106:107]
	v_fma_f64 v[106:107], v[177:178], s[20:21], -v[159:160]
	v_add_f64 v[167:168], v[189:190], v[167:168]
	v_add_f64 v[102:103], v[98:99], v[127:128]
	;; [unrolled: 1-line block ×5, first 2 shown]
	v_fma_f64 v[104:105], v[179:180], s[20:21], v[169:170]
	v_fma_f64 v[108:109], v[177:178], s[20:21], v[159:160]
	v_mul_f64 v[133:134], v[165:166], s[16:17]
	v_mul_f64 v[159:160], v[171:172], s[16:17]
	v_add_f64 v[96:97], v[123:124], v[161:162]
	v_fma_f64 v[127:128], v[179:180], s[20:21], -v[169:170]
	v_add_f64 v[123:124], v[106:107], v[163:164]
	v_mul_f64 v[161:162], v[165:166], s[14:15]
	v_mul_f64 v[163:164], v[171:172], s[14:15]
	v_add_f64 v[135:136], v[191:192], v[135:136]
	v_add_f64 v[137:138], v[193:194], v[137:138]
	v_add_f64 v[125:126], v[104:105], v[167:168]
	v_add_f64 v[104:105], v[108:109], v[129:130]
	v_fma_f64 v[108:109], v[177:178], s[4:5], -v[133:134]
	v_fma_f64 v[129:130], v[179:180], s[4:5], v[159:160]
	v_add_f64 v[106:107], v[127:128], v[131:132]
	v_fma_f64 v[131:132], v[177:178], s[4:5], v[133:134]
	v_fma_f64 v[133:134], v[177:178], s[12:13], -v[161:162]
	v_fma_f64 v[165:166], v[179:180], s[12:13], v[163:164]
	v_fma_f64 v[161:162], v[177:178], s[12:13], v[161:162]
	v_fma_f64 v[163:164], v[179:180], s[12:13], -v[163:164]
	v_fma_f64 v[167:168], v[179:180], s[4:5], -v[159:160]
	v_add_f64 v[127:128], v[108:109], v[135:136]
	v_add_f64 v[129:130], v[129:130], v[137:138]
	s_movk_i32 s2, 0x2000
	v_add_f64 v[135:136], v[133:134], v[173:174]
	v_add_f64 v[137:138], v[165:166], v[175:176]
	;; [unrolled: 1-line block ×5, first 2 shown]
	v_add_co_u32_e64 v108, s[2:3], s2, v140
	v_add_f64 v[133:134], v[167:168], v[181:182]
	s_movk_i32 s4, 0x2100
	v_addc_co_u32_e64 v109, s[2:3], 0, v110, s[2:3]
	ds_write_b128 v143, v[111:114]
	ds_write_b128 v143, v[115:118] offset:768
	ds_write_b128 v143, v[119:122] offset:1536
	ds_write_b128 v143, v[123:126] offset:2304
	ds_write_b128 v143, v[127:130] offset:3072
	ds_write_b128 v143, v[135:138] offset:3840
	ds_write_b128 v143, v[157:160] offset:4608
	ds_write_b128 v143, v[131:134] offset:5376
	ds_write_b128 v143, v[104:107] offset:6144
	ds_write_b128 v143, v[96:99] offset:6912
	ds_write_b128 v143, v[100:103] offset:7680
	s_waitcnt lgkmcnt(0)
	; wave barrier
	s_waitcnt lgkmcnt(0)
	global_load_dwordx4 v[111:114], v[108:109], off offset:256
	v_add_co_u32_e64 v108, s[2:3], s4, v140
	v_addc_co_u32_e64 v109, s[2:3], 0, v110, s[2:3]
	global_load_dwordx4 v[115:118], v[108:109], off offset:2112
	s_movk_i32 s2, 0x3000
	v_add_co_u32_e64 v157, s[2:3], s2, v140
	v_addc_co_u32_e64 v158, s[2:3], 0, v110, s[2:3]
	global_load_dwordx4 v[119:122], v[157:158], off offset:384
	global_load_dwordx4 v[123:126], v[157:158], off offset:2496
	;; [unrolled: 1-line block ×5, first 2 shown]
	s_nop 0
	global_load_dwordx4 v[157:160], v[157:158], off offset:3264
	ds_read_b128 v[161:164], v143
	ds_read_b128 v[165:168], v143 offset:768
	ds_read_b128 v[169:172], v143 offset:2112
	;; [unrolled: 1-line block ×7, first 2 shown]
	s_waitcnt vmcnt(7) lgkmcnt(7)
	v_mul_f64 v[193:194], v[163:164], v[113:114]
	v_mul_f64 v[113:114], v[161:162], v[113:114]
	s_waitcnt vmcnt(6) lgkmcnt(5)
	v_mul_f64 v[195:196], v[171:172], v[117:118]
	v_mul_f64 v[117:118], v[169:170], v[117:118]
	;; [unrolled: 3-line block ×4, first 2 shown]
	v_fma_f64 v[161:162], v[161:162], v[111:112], -v[193:194]
	v_fma_f64 v[163:164], v[163:164], v[111:112], v[113:114]
	v_fma_f64 v[110:111], v[169:170], v[115:116], -v[195:196]
	v_fma_f64 v[112:113], v[171:172], v[115:116], v[117:118]
	;; [unrolled: 2-line block ×4, first 2 shown]
	s_waitcnt vmcnt(3)
	v_mul_f64 v[122:123], v[167:168], v[129:130]
	v_mul_f64 v[124:125], v[165:166], v[129:130]
	s_waitcnt vmcnt(2)
	v_mul_f64 v[129:130], v[175:176], v[133:134]
	v_mul_f64 v[133:134], v[173:174], v[133:134]
	s_waitcnt vmcnt(1) lgkmcnt(1)
	v_mul_f64 v[169:170], v[187:188], v[137:138]
	v_mul_f64 v[137:138], v[185:186], v[137:138]
	s_waitcnt vmcnt(0) lgkmcnt(0)
	v_mul_f64 v[171:172], v[191:192], v[159:160]
	v_mul_f64 v[159:160], v[189:190], v[159:160]
	v_fma_f64 v[122:123], v[165:166], v[127:128], -v[122:123]
	v_fma_f64 v[124:125], v[167:168], v[127:128], v[124:125]
	v_fma_f64 v[126:127], v[173:174], v[131:132], -v[129:130]
	v_fma_f64 v[128:129], v[175:176], v[131:132], v[133:134]
	;; [unrolled: 2-line block ×4, first 2 shown]
	ds_write_b128 v143, v[161:164]
	ds_write_b128 v143, v[110:113] offset:2112
	ds_write_b128 v143, v[114:117] offset:4224
	;; [unrolled: 1-line block ×7, first 2 shown]
	s_and_saveexec_b64 s[4:5], vcc
	s_cbranch_execz .LBB0_17
; %bb.16:
	s_movk_i32 s2, 0x1000
	global_load_dwordx4 v[110:113], v[108:109], off offset:1536
	global_load_dwordx4 v[114:117], v[108:109], off offset:3648
	v_add_co_u32_e64 v108, s[2:3], s2, v108
	v_addc_co_u32_e64 v109, s[2:3], 0, v109, s[2:3]
	global_load_dwordx4 v[118:121], v[108:109], off offset:1664
	global_load_dwordx4 v[122:125], v[108:109], off offset:3776
	ds_read_b128 v[126:129], v143 offset:1536
	ds_read_b128 v[130:133], v143 offset:3648
	;; [unrolled: 1-line block ×4, first 2 shown]
	s_waitcnt vmcnt(3) lgkmcnt(3)
	v_mul_f64 v[108:109], v[128:129], v[112:113]
	v_mul_f64 v[112:113], v[126:127], v[112:113]
	s_waitcnt vmcnt(2) lgkmcnt(2)
	v_mul_f64 v[138:139], v[132:133], v[116:117]
	v_mul_f64 v[116:117], v[130:131], v[116:117]
	;; [unrolled: 3-line block ×4, first 2 shown]
	v_fma_f64 v[108:109], v[126:127], v[110:111], -v[108:109]
	v_fma_f64 v[110:111], v[128:129], v[110:111], v[112:113]
	v_fma_f64 v[112:113], v[130:131], v[114:115], -v[138:139]
	v_fma_f64 v[114:115], v[132:133], v[114:115], v[116:117]
	;; [unrolled: 2-line block ×4, first 2 shown]
	ds_write_b128 v143, v[108:111] offset:1536
	ds_write_b128 v143, v[112:115] offset:3648
	;; [unrolled: 1-line block ×4, first 2 shown]
.LBB0_17:
	s_or_b64 exec, exec, s[4:5]
	s_waitcnt lgkmcnt(0)
	; wave barrier
	s_waitcnt lgkmcnt(0)
	ds_read_b128 v[116:119], v143
	ds_read_b128 v[112:115], v143 offset:768
	ds_read_b128 v[120:123], v143 offset:2112
	;; [unrolled: 1-line block ×7, first 2 shown]
	s_and_saveexec_b64 s[2:3], vcc
	s_cbranch_execz .LBB0_19
; %bb.18:
	ds_read_b128 v[104:107], v143 offset:1536
	ds_read_b128 v[96:99], v143 offset:3648
	;; [unrolled: 1-line block ×4, first 2 shown]
.LBB0_19:
	s_or_b64 exec, exec, s[2:3]
	s_waitcnt lgkmcnt(3)
	v_add_f64 v[138:139], v[118:119], -v[138:139]
	s_waitcnt lgkmcnt(1)
	v_add_f64 v[134:135], v[122:123], -v[134:135]
	v_add_f64 v[136:137], v[116:117], -v[136:137]
	;; [unrolled: 1-line block ×6, first 2 shown]
	s_waitcnt lgkmcnt(0)
	v_add_f64 v[92:93], v[96:97], -v[92:93]
	v_fma_f64 v[159:160], v[118:119], 2.0, -v[138:139]
	v_fma_f64 v[118:119], v[122:123], 2.0, -v[134:135]
	v_add_f64 v[94:95], v[98:99], -v[94:95]
	v_add_f64 v[157:158], v[112:113], -v[128:129]
	;; [unrolled: 1-line block ×4, first 2 shown]
	v_fma_f64 v[128:129], v[116:117], 2.0, -v[136:137]
	v_fma_f64 v[116:117], v[120:121], 2.0, -v[132:133]
	v_add_f64 v[120:121], v[136:137], v[134:135]
	v_add_f64 v[118:119], v[159:160], -v[118:119]
	v_fma_f64 v[134:135], v[114:115], 2.0, -v[161:162]
	v_fma_f64 v[165:166], v[106:107], 2.0, -v[102:103]
	;; [unrolled: 1-line block ×4, first 2 shown]
	v_add_f64 v[122:123], v[138:139], -v[132:133]
	v_fma_f64 v[132:133], v[112:113], 2.0, -v[157:158]
	v_fma_f64 v[124:125], v[108:109], 2.0, -v[130:131]
	;; [unrolled: 1-line block ×5, first 2 shown]
	v_add_f64 v[116:117], v[128:129], -v[116:117]
	v_add_f64 v[98:99], v[165:166], -v[98:99]
	v_add_f64 v[104:105], v[100:101], v[94:95]
	v_add_f64 v[106:107], v[102:103], -v[92:93]
	v_add_f64 v[124:125], v[132:133], -v[124:125]
	v_add_f64 v[130:131], v[161:162], -v[130:131]
	v_add_f64 v[96:97], v[159:160], -v[96:97]
	v_add_f64 v[126:127], v[134:135], -v[126:127]
	v_fma_f64 v[112:113], v[128:129], 2.0, -v[116:117]
	v_add_f64 v[128:129], v[157:158], v[163:164]
	v_fma_f64 v[94:95], v[165:166], 2.0, -v[98:99]
	v_fma_f64 v[100:101], v[100:101], 2.0, -v[104:105]
	;; [unrolled: 1-line block ×10, first 2 shown]
	s_waitcnt lgkmcnt(0)
	; wave barrier
	ds_write_b128 v148, v[112:115]
	ds_write_b128 v148, v[108:111] offset:16
	ds_write_b128 v148, v[116:119] offset:32
	;; [unrolled: 1-line block ×3, first 2 shown]
	ds_write_b128 v149, v[132:135]
	ds_write_b128 v149, v[136:139] offset:16
	ds_write_b128 v149, v[124:127] offset:32
	;; [unrolled: 1-line block ×3, first 2 shown]
	s_and_saveexec_b64 s[2:3], vcc
	s_cbranch_execz .LBB0_21
; %bb.20:
	ds_write_b128 v147, v[92:95]
	ds_write_b128 v147, v[100:103] offset:16
	ds_write_b128 v147, v[96:99] offset:32
	;; [unrolled: 1-line block ×3, first 2 shown]
.LBB0_21:
	s_or_b64 exec, exec, s[2:3]
	s_waitcnt lgkmcnt(0)
	; wave barrier
	s_waitcnt lgkmcnt(0)
	ds_read_b128 v[112:115], v143
	ds_read_b128 v[108:111], v143 offset:768
	ds_read_b128 v[132:135], v143 offset:2112
	;; [unrolled: 1-line block ×7, first 2 shown]
	s_and_saveexec_b64 s[2:3], vcc
	s_cbranch_execz .LBB0_23
; %bb.22:
	ds_read_b128 v[92:95], v143 offset:1536
	ds_read_b128 v[100:103], v143 offset:3648
	;; [unrolled: 1-line block ×4, first 2 shown]
.LBB0_23:
	s_or_b64 exec, exec, s[2:3]
	s_waitcnt lgkmcnt(5)
	v_mul_f64 v[147:148], v[42:43], v[134:135]
	s_waitcnt lgkmcnt(3)
	v_mul_f64 v[159:160], v[38:39], v[138:139]
	;; [unrolled: 2-line block ×3, first 2 shown]
	v_mul_f64 v[157:158], v[42:43], v[132:133]
	v_mul_f64 v[161:162], v[38:39], v[136:137]
	s_waitcnt lgkmcnt(0)
	v_mul_f64 v[167:168], v[34:35], v[126:127]
	v_mul_f64 v[165:166], v[38:39], v[120:121]
	;; [unrolled: 1-line block ×3, first 2 shown]
	v_fma_f64 v[132:133], v[40:41], v[132:133], v[147:148]
	v_mul_f64 v[147:148], v[34:35], v[128:129]
	v_fma_f64 v[136:137], v[36:37], v[136:137], v[159:160]
	v_fma_f64 v[128:129], v[32:33], v[128:129], v[163:164]
	v_fma_f64 v[134:135], v[40:41], v[134:135], -v[157:158]
	v_fma_f64 v[138:139], v[36:37], v[138:139], -v[161:162]
	v_mul_f64 v[157:158], v[42:43], v[118:119]
	v_mul_f64 v[159:160], v[42:43], v[116:117]
	;; [unrolled: 1-line block ×3, first 2 shown]
	v_fma_f64 v[130:131], v[32:33], v[130:131], -v[147:148]
	v_add_f64 v[136:137], v[112:113], -v[136:137]
	v_add_f64 v[128:129], v[132:133], -v[128:129]
	v_fma_f64 v[124:125], v[32:33], v[124:125], v[167:168]
	v_add_f64 v[138:139], v[114:115], -v[138:139]
	v_fma_f64 v[116:117], v[40:41], v[116:117], v[157:158]
	v_fma_f64 v[118:119], v[40:41], v[118:119], -v[159:160]
	v_fma_f64 v[120:121], v[36:37], v[120:121], v[161:162]
	v_add_f64 v[130:131], v[134:135], -v[130:131]
	v_mul_f64 v[147:148], v[42:43], v[102:103]
	v_mul_f64 v[42:43], v[42:43], v[100:101]
	;; [unrolled: 1-line block ×6, first 2 shown]
	v_fma_f64 v[112:113], v[112:113], 2.0, -v[136:137]
	v_fma_f64 v[132:133], v[132:133], 2.0, -v[128:129]
	v_fma_f64 v[122:123], v[36:37], v[122:123], -v[165:166]
	v_fma_f64 v[126:127], v[32:33], v[126:127], -v[169:170]
	v_fma_f64 v[114:115], v[114:115], 2.0, -v[138:139]
	v_fma_f64 v[134:135], v[134:135], 2.0, -v[130:131]
	v_fma_f64 v[147:148], v[40:41], v[100:101], v[147:148]
	v_fma_f64 v[40:41], v[40:41], v[102:103], -v[42:43]
	v_fma_f64 v[42:43], v[36:37], v[96:97], v[157:158]
	v_fma_f64 v[36:37], v[36:37], v[98:99], -v[38:39]
	;; [unrolled: 2-line block ×3, first 2 shown]
	v_add_f64 v[96:97], v[112:113], -v[132:133]
	v_add_f64 v[34:35], v[108:109], -v[120:121]
	;; [unrolled: 1-line block ×6, first 2 shown]
	v_add_f64 v[100:101], v[136:137], v[130:131]
	v_add_f64 v[102:103], v[138:139], -v[128:129]
	v_fma_f64 v[104:105], v[112:113], 2.0, -v[96:97]
	v_fma_f64 v[124:125], v[108:109], 2.0, -v[34:35]
	;; [unrolled: 1-line block ×3, first 2 shown]
	v_add_f64 v[128:129], v[92:93], -v[42:43]
	v_add_f64 v[130:131], v[94:95], -v[36:37]
	;; [unrolled: 1-line block ×4, first 2 shown]
	v_fma_f64 v[106:107], v[114:115], 2.0, -v[98:99]
	v_fma_f64 v[126:127], v[110:111], 2.0, -v[132:133]
	v_fma_f64 v[114:115], v[118:119], 2.0, -v[122:123]
	v_add_f64 v[112:113], v[124:125], -v[112:113]
	v_add_f64 v[116:117], v[34:35], v[122:123]
	v_fma_f64 v[92:93], v[92:93], 2.0, -v[128:129]
	v_fma_f64 v[94:95], v[94:95], 2.0, -v[130:131]
	;; [unrolled: 1-line block ×4, first 2 shown]
	v_add_f64 v[40:41], v[128:129], v[32:33]
	v_add_f64 v[42:43], v[130:131], -v[36:37]
	v_add_f64 v[114:115], v[126:127], -v[114:115]
	;; [unrolled: 1-line block ×3, first 2 shown]
	v_fma_f64 v[120:121], v[124:125], 2.0, -v[112:113]
	v_fma_f64 v[124:125], v[34:35], 2.0, -v[116:117]
	v_add_f64 v[36:37], v[92:93], -v[38:39]
	v_add_f64 v[38:39], v[94:95], -v[134:135]
	v_fma_f64 v[32:33], v[128:129], 2.0, -v[40:41]
	v_fma_f64 v[34:35], v[130:131], 2.0, -v[42:43]
	;; [unrolled: 1-line block ×6, first 2 shown]
	s_waitcnt lgkmcnt(0)
	; wave barrier
	ds_write_b128 v150, v[104:107]
	ds_write_b128 v150, v[108:111] offset:64
	ds_write_b128 v150, v[96:99] offset:128
	;; [unrolled: 1-line block ×3, first 2 shown]
	ds_write_b128 v151, v[120:123]
	ds_write_b128 v151, v[124:127] offset:64
	ds_write_b128 v151, v[112:115] offset:128
	;; [unrolled: 1-line block ×3, first 2 shown]
	s_and_saveexec_b64 s[2:3], vcc
	s_cbranch_execz .LBB0_25
; %bb.24:
	v_fma_f64 v[94:95], v[94:95], 2.0, -v[38:39]
	v_fma_f64 v[92:93], v[92:93], 2.0, -v[36:37]
	s_movk_i32 s4, 0x3f0
	v_and_or_b32 v96, v152, s4, v145
	v_lshlrev_b32_e32 v96, 4, v96
	ds_write_b128 v96, v[32:35] offset:64
	ds_write_b128 v96, v[36:39] offset:128
	ds_write_b128 v96, v[92:95]
	ds_write_b128 v96, v[40:43] offset:192
.LBB0_25:
	s_or_b64 exec, exec, s[2:3]
	s_waitcnt lgkmcnt(0)
	; wave barrier
	s_waitcnt lgkmcnt(0)
	ds_read_b128 v[100:103], v143
	ds_read_b128 v[96:99], v143 offset:768
	ds_read_b128 v[120:123], v143 offset:5632
	;; [unrolled: 1-line block ×8, first 2 shown]
	s_and_saveexec_b64 s[2:3], s[0:1]
	s_cbranch_execz .LBB0_27
; %bb.26:
	ds_read_b128 v[32:35], v143 offset:2304
	ds_read_b128 v[36:39], v143 offset:5120
	;; [unrolled: 1-line block ×3, first 2 shown]
.LBB0_27:
	s_or_b64 exec, exec, s[2:3]
	s_waitcnt lgkmcnt(4)
	v_mul_f64 v[128:129], v[50:51], v[126:127]
	v_mul_f64 v[130:131], v[46:47], v[122:123]
	;; [unrolled: 1-line block ×4, first 2 shown]
	s_waitcnt lgkmcnt(2)
	v_mul_f64 v[136:137], v[50:51], v[118:119]
	v_mul_f64 v[147:148], v[46:47], v[110:111]
	;; [unrolled: 1-line block ×3, first 2 shown]
	s_waitcnt lgkmcnt(0)
	v_mul_f64 v[157:158], v[46:47], v[104:105]
	v_fma_f64 v[124:125], v[48:49], v[124:125], v[128:129]
	v_fma_f64 v[120:121], v[44:45], v[120:121], v[130:131]
	v_fma_f64 v[126:127], v[48:49], v[126:127], -v[132:133]
	v_fma_f64 v[122:123], v[44:45], v[122:123], -v[134:135]
	v_mul_f64 v[128:129], v[46:47], v[108:109]
	v_mul_f64 v[130:131], v[50:51], v[114:115]
	v_fma_f64 v[134:135], v[48:49], v[116:117], v[136:137]
	v_fma_f64 v[136:137], v[44:45], v[108:109], v[147:148]
	v_mul_f64 v[149:150], v[50:51], v[112:113]
	v_mul_f64 v[151:152], v[46:47], v[106:107]
	v_add_f64 v[132:133], v[124:125], v[120:121]
	v_add_f64 v[108:109], v[100:101], v[124:125]
	;; [unrolled: 1-line block ×3, first 2 shown]
	v_fma_f64 v[118:119], v[48:49], v[118:119], -v[138:139]
	v_fma_f64 v[128:129], v[44:45], v[110:111], -v[128:129]
	v_fma_f64 v[130:131], v[48:49], v[112:113], v[130:131]
	v_add_f64 v[112:113], v[126:127], -v[122:123]
	v_add_f64 v[126:127], v[102:103], v[126:127]
	v_fma_f64 v[138:139], v[44:45], v[106:107], -v[157:158]
	v_add_f64 v[106:107], v[134:135], v[136:137]
	v_fma_f64 v[114:115], v[48:49], v[114:115], -v[149:150]
	v_fma_f64 v[110:111], v[132:133], -0.5, v[100:101]
	v_fma_f64 v[132:133], v[44:45], v[104:105], v[151:152]
	v_add_f64 v[100:101], v[108:109], v[120:121]
	v_fma_f64 v[116:117], v[116:117], -0.5, v[102:103]
	v_add_f64 v[120:121], v[124:125], -v[120:121]
	v_add_f64 v[124:125], v[96:97], v[134:135]
	v_add_f64 v[102:103], v[126:127], v[122:123]
	;; [unrolled: 1-line block ×3, first 2 shown]
	s_mov_b32 s2, 0xe8584caa
	s_mov_b32 s3, 0xbfebb67a
	;; [unrolled: 1-line block ×4, first 2 shown]
	v_fma_f64 v[147:148], v[106:107], -0.5, v[96:97]
	v_add_f64 v[149:150], v[118:119], -v[128:129]
	v_fma_f64 v[104:105], v[112:113], s[2:3], v[110:111]
	v_fma_f64 v[108:109], v[112:113], s[4:5], v[110:111]
	;; [unrolled: 1-line block ×4, first 2 shown]
	v_add_f64 v[96:97], v[124:125], v[136:137]
	v_add_f64 v[120:121], v[130:131], v[132:133]
	;; [unrolled: 1-line block ×4, first 2 shown]
	v_fma_f64 v[122:123], v[122:123], -0.5, v[98:99]
	v_add_f64 v[126:127], v[134:135], -v[136:137]
	v_fma_f64 v[112:113], v[149:150], s[2:3], v[147:148]
	v_fma_f64 v[116:117], v[149:150], s[4:5], v[147:148]
	v_add_f64 v[134:135], v[92:93], v[130:131]
	v_add_f64 v[149:150], v[94:95], v[114:115]
	v_fma_f64 v[136:137], v[120:121], -0.5, v[92:93]
	v_add_f64 v[147:148], v[114:115], -v[138:139]
	v_fma_f64 v[151:152], v[124:125], -0.5, v[94:95]
	v_add_f64 v[130:131], v[130:131], -v[132:133]
	v_add_f64 v[98:99], v[118:119], v[128:129]
	v_fma_f64 v[114:115], v[126:127], s[4:5], v[122:123]
	v_fma_f64 v[118:119], v[126:127], s[2:3], v[122:123]
	v_add_f64 v[92:93], v[134:135], v[132:133]
	v_add_f64 v[94:95], v[149:150], v[138:139]
	v_fma_f64 v[120:121], v[147:148], s[2:3], v[136:137]
	v_fma_f64 v[124:125], v[147:148], s[4:5], v[136:137]
	;; [unrolled: 1-line block ×4, first 2 shown]
	s_waitcnt lgkmcnt(0)
	; wave barrier
	ds_write_b128 v155, v[100:103]
	ds_write_b128 v155, v[104:107] offset:256
	ds_write_b128 v155, v[108:111] offset:512
	ds_write_b128 v154, v[96:99]
	ds_write_b128 v154, v[112:115] offset:256
	ds_write_b128 v154, v[116:119] offset:512
	;; [unrolled: 3-line block ×3, first 2 shown]
	s_and_saveexec_b64 s[12:13], s[0:1]
	s_cbranch_execz .LBB0_29
; %bb.28:
	v_mul_f64 v[92:93], v[50:51], v[36:37]
	v_mul_f64 v[94:95], v[46:47], v[40:41]
	;; [unrolled: 1-line block ×4, first 2 shown]
	v_fma_f64 v[38:39], v[48:49], v[38:39], -v[92:93]
	v_fma_f64 v[42:43], v[44:45], v[42:43], -v[94:95]
	v_fma_f64 v[36:37], v[48:49], v[36:37], v[50:51]
	v_fma_f64 v[40:41], v[44:45], v[40:41], v[46:47]
	v_add_f64 v[50:51], v[38:39], v[34:35]
	v_add_f64 v[44:45], v[42:43], v[38:39]
	v_add_f64 v[92:93], v[38:39], -v[42:43]
	v_add_f64 v[46:47], v[40:41], v[36:37]
	v_add_f64 v[48:49], v[36:37], -v[40:41]
	v_add_f64 v[36:37], v[32:33], v[36:37]
	v_fma_f64 v[44:45], v[44:45], -0.5, v[34:35]
	v_add_f64 v[34:35], v[42:43], v[50:51]
	v_fma_f64 v[46:47], v[46:47], -0.5, v[32:33]
	v_add_f64 v[32:33], v[40:41], v[36:37]
	v_fma_f64 v[42:43], v[48:49], s[4:5], v[44:45]
	v_fma_f64 v[38:39], v[48:49], s[2:3], v[44:45]
	;; [unrolled: 1-line block ×4, first 2 shown]
	v_mul_u32_u24_e32 v44, 48, v156
	v_or_b32_e32 v44, v44, v146
	v_lshlrev_b32_e32 v44, 4, v44
	ds_write_b128 v44, v[32:35]
	ds_write_b128 v44, v[40:43] offset:256
	ds_write_b128 v44, v[36:39] offset:512
.LBB0_29:
	s_or_b64 exec, exec, s[12:13]
	s_waitcnt lgkmcnt(0)
	; wave barrier
	s_waitcnt lgkmcnt(0)
	ds_read_b128 v[32:35], v143 offset:768
	ds_read_b128 v[36:39], v143 offset:1536
	;; [unrolled: 1-line block ×3, first 2 shown]
	s_mov_b32 s12, 0xf8bb580b
	s_mov_b32 s4, 0x8764f0ba
	s_waitcnt lgkmcnt(2)
	v_mul_f64 v[44:45], v[90:91], v[34:35]
	v_mul_f64 v[46:47], v[90:91], v[32:33]
	s_waitcnt lgkmcnt(1)
	v_mul_f64 v[48:49], v[86:87], v[38:39]
	v_mul_f64 v[50:51], v[86:87], v[36:37]
	s_mov_b32 s2, 0xd9c712b6
	s_mov_b32 s16, 0x43842ef
	;; [unrolled: 1-line block ×4, first 2 shown]
	v_fma_f64 v[86:87], v[88:89], v[32:33], v[44:45]
	v_fma_f64 v[88:89], v[88:89], v[34:35], -v[46:47]
	ds_read_b128 v[44:47], v143
	s_waitcnt lgkmcnt(1)
	v_mul_f64 v[90:91], v[66:67], v[42:43]
	v_mul_f64 v[66:67], v[66:67], v[40:41]
	v_fma_f64 v[92:93], v[84:85], v[36:37], v[48:49]
	v_fma_f64 v[94:95], v[84:85], v[38:39], -v[50:51]
	ds_read_b128 v[32:35], v143 offset:3072
	ds_read_b128 v[48:51], v143 offset:3840
	s_waitcnt lgkmcnt(2)
	v_add_f64 v[38:39], v[44:45], v[86:87]
	v_add_f64 v[84:85], v[46:47], v[88:89]
	v_fma_f64 v[90:91], v[64:65], v[40:41], v[90:91]
	s_waitcnt lgkmcnt(1)
	v_mul_f64 v[96:97], v[58:59], v[34:35]
	v_mul_f64 v[58:59], v[58:59], v[32:33]
	v_fma_f64 v[42:43], v[64:65], v[42:43], -v[66:67]
	s_waitcnt lgkmcnt(0)
	v_mul_f64 v[100:101], v[82:83], v[50:51]
	v_mul_f64 v[102:103], v[82:83], v[48:49]
	v_add_f64 v[98:99], v[38:39], v[92:93]
	v_add_f64 v[84:85], v[84:85], v[94:95]
	ds_read_b128 v[38:41], v143 offset:4608
	ds_read_b128 v[64:67], v143 offset:5376
	v_fma_f64 v[96:97], v[56:57], v[32:33], v[96:97]
	v_fma_f64 v[104:105], v[56:57], v[34:35], -v[58:59]
	v_mad_u64_u32 v[36:37], s[0:1], s10, v142, 0
	s_waitcnt lgkmcnt(1)
	v_mul_f64 v[108:109], v[70:71], v[40:41]
	v_add_f64 v[98:99], v[98:99], v[90:91]
	v_add_f64 v[106:107], v[84:85], v[42:43]
	v_mul_f64 v[70:71], v[70:71], v[38:39]
	v_fma_f64 v[48:49], v[80:81], v[48:49], v[100:101]
	v_fma_f64 v[50:51], v[80:81], v[50:51], -v[102:103]
	ds_read_b128 v[32:35], v143 offset:6144
	ds_read_b128 v[56:59], v143 offset:6912
	;; [unrolled: 1-line block ×3, first 2 shown]
	s_waitcnt lgkmcnt(3)
	v_mul_f64 v[100:101], v[62:63], v[66:67]
	v_mul_f64 v[62:63], v[62:63], v[64:65]
	v_add_f64 v[80:81], v[98:99], v[96:97]
	v_add_f64 v[98:99], v[106:107], v[104:105]
	v_fma_f64 v[38:39], v[68:69], v[38:39], v[108:109]
	v_fma_f64 v[40:41], v[68:69], v[40:41], -v[70:71]
	s_mov_b32 s0, 0x8eee2c13
	s_mov_b32 s26, 0x7f775887
	v_fma_f64 v[64:65], v[60:61], v[64:65], v[100:101]
	v_fma_f64 v[60:61], v[60:61], v[66:67], -v[62:63]
	v_add_f64 v[68:69], v[80:81], v[48:49]
	v_add_f64 v[70:71], v[98:99], v[50:51]
	s_waitcnt lgkmcnt(0)
	v_mul_f64 v[80:81], v[78:79], v[82:83]
	v_mul_f64 v[98:99], v[54:55], v[34:35]
	;; [unrolled: 1-line block ×3, first 2 shown]
	s_mov_b32 s30, 0xfd768dbf
	s_mov_b32 s34, 0x9bcd5057
	;; [unrolled: 1-line block ×3, first 2 shown]
	v_add_f64 v[62:63], v[68:69], v[38:39]
	v_add_f64 v[66:67], v[70:71], v[40:41]
	v_mul_f64 v[68:69], v[78:79], v[84:85]
	v_fma_f64 v[70:71], v[76:77], v[84:85], -v[80:81]
	v_mul_f64 v[78:79], v[74:75], v[58:59]
	v_mul_f64 v[74:75], v[74:75], v[56:57]
	v_fma_f64 v[80:81], v[52:53], v[32:33], v[98:99]
	v_fma_f64 v[52:53], v[52:53], v[34:35], -v[54:55]
	v_add_f64 v[32:33], v[62:63], v[64:65]
	v_add_f64 v[34:35], v[66:67], v[60:61]
	v_fma_f64 v[54:55], v[76:77], v[82:83], v[68:69]
	v_add_f64 v[62:63], v[88:89], -v[70:71]
	v_add_f64 v[66:67], v[88:89], v[70:71]
	v_fma_f64 v[58:59], v[72:73], v[58:59], -v[74:75]
	s_mov_b32 s5, 0x3feaeb8c
	s_mov_b32 s1, 0xbfed1bb4
	;; [unrolled: 1-line block ×9, first 2 shown]
	v_fma_f64 v[56:57], v[72:73], v[56:57], v[78:79]
	v_add_f64 v[32:33], v[32:33], v[80:81]
	v_add_f64 v[34:35], v[34:35], v[52:53]
	;; [unrolled: 1-line block ×3, first 2 shown]
	v_mul_f64 v[72:73], v[62:63], s[12:13]
	v_add_f64 v[74:75], v[86:87], -v[54:55]
	v_mul_f64 v[76:77], v[66:67], s[4:5]
	v_mul_f64 v[82:83], v[62:63], s[0:1]
	;; [unrolled: 1-line block ×9, first 2 shown]
	v_add_f64 v[114:115], v[94:95], -v[58:59]
	s_mov_b32 s37, 0x3fd207e7
	s_mov_b32 s36, s30
	v_add_f64 v[32:33], v[32:33], v[56:57]
	v_add_f64 v[34:35], v[34:35], v[58:59]
	v_fma_f64 v[78:79], v[68:69], s[4:5], v[72:73]
	v_add_f64 v[58:59], v[94:95], v[58:59]
	v_fma_f64 v[94:95], v[68:69], s[34:35], v[62:63]
	v_fma_f64 v[116:117], v[74:75], s[36:37], v[66:67]
	v_add_f64 v[118:119], v[92:93], v[56:57]
	v_add_f64 v[56:57], v[92:93], -v[56:57]
	v_mul_f64 v[92:93], v[114:115], s[0:1]
	s_mov_b32 s19, 0x3fe14ced
	s_mov_b32 s18, s12
	;; [unrolled: 1-line block ×8, first 2 shown]
	v_add_f64 v[32:33], v[32:33], v[54:55]
	v_add_f64 v[34:35], v[34:35], v[70:71]
	v_fma_f64 v[54:55], v[74:75], s[18:19], v[76:77]
	v_fma_f64 v[70:71], v[68:69], s[4:5], -v[72:73]
	v_add_f64 v[72:73], v[44:45], v[78:79]
	v_fma_f64 v[76:77], v[74:75], s[12:13], v[76:77]
	v_fma_f64 v[78:79], v[68:69], s[2:3], v[82:83]
	v_fma_f64 v[86:87], v[74:75], s[14:15], v[84:85]
	v_fma_f64 v[82:83], v[68:69], s[2:3], -v[82:83]
	v_fma_f64 v[84:85], v[74:75], s[0:1], v[84:85]
	v_fma_f64 v[98:99], v[68:69], s[20:21], v[88:89]
	v_fma_f64 v[108:109], v[74:75], s[22:23], v[100:101]
	v_fma_f64 v[88:89], v[68:69], s[20:21], -v[88:89]
	;; [unrolled: 4-line block ×3, first 2 shown]
	v_fma_f64 v[106:107], v[74:75], s[24:25], v[106:107]
	v_mul_f64 v[120:121], v[58:59], s[2:3]
	v_fma_f64 v[62:63], v[68:69], s[34:35], -v[62:63]
	v_fma_f64 v[66:67], v[74:75], s[30:31], v[66:67]
	v_add_f64 v[68:69], v[44:45], v[94:95]
	v_add_f64 v[74:75], v[46:47], v[116:117]
	v_mul_f64 v[94:95], v[114:115], s[24:25]
	v_mul_f64 v[116:117], v[58:59], s[26:27]
	v_fma_f64 v[122:123], v[118:119], s[2:3], v[92:93]
	v_add_f64 v[54:55], v[46:47], v[54:55]
	v_add_f64 v[70:71], v[44:45], v[70:71]
	;; [unrolled: 1-line block ×15, first 2 shown]
	v_fma_f64 v[124:125], v[56:57], s[14:15], v[120:121]
	v_add_f64 v[44:45], v[44:45], v[62:63]
	v_add_f64 v[46:47], v[46:47], v[66:67]
	v_fma_f64 v[62:63], v[118:119], s[2:3], -v[92:93]
	v_fma_f64 v[66:67], v[56:57], s[0:1], v[120:121]
	v_fma_f64 v[92:93], v[118:119], s[26:27], v[94:95]
	;; [unrolled: 1-line block ×3, first 2 shown]
	v_add_f64 v[72:73], v[122:123], v[72:73]
	v_mul_f64 v[122:123], v[114:115], s[36:37]
	v_add_f64 v[54:55], v[124:125], v[54:55]
	v_mul_f64 v[124:125], v[58:59], s[34:35]
	v_add_f64 v[62:63], v[62:63], v[70:71]
	v_add_f64 v[66:67], v[66:67], v[76:77]
	v_add_f64 v[70:71], v[92:93], v[78:79]
	v_add_f64 v[76:77], v[120:121], v[86:87]
	v_fma_f64 v[78:79], v[118:119], s[26:27], -v[94:95]
	v_fma_f64 v[86:87], v[56:57], s[24:25], v[116:117]
	v_fma_f64 v[92:93], v[118:119], s[34:35], v[122:123]
	v_mul_f64 v[116:117], v[114:115], s[22:23]
	v_fma_f64 v[94:95], v[56:57], s[30:31], v[124:125]
	v_mul_f64 v[120:121], v[58:59], s[20:21]
	;; [unrolled: 2-line block ×3, first 2 shown]
	v_add_f64 v[78:79], v[78:79], v[82:83]
	v_add_f64 v[82:83], v[86:87], v[84:85]
	;; [unrolled: 1-line block ×3, first 2 shown]
	v_fma_f64 v[92:93], v[118:119], s[20:21], v[116:117]
	v_add_f64 v[86:87], v[94:95], v[108:109]
	v_fma_f64 v[108:109], v[56:57], s[22:23], v[120:121]
	v_add_f64 v[98:99], v[124:125], v[100:101]
	v_fma_f64 v[100:101], v[118:119], s[20:21], -v[116:117]
	v_mul_f64 v[58:59], v[58:59], s[4:5]
	v_fma_f64 v[94:95], v[56:57], s[16:17], v[120:121]
	v_fma_f64 v[122:123], v[118:119], s[34:35], -v[122:123]
	v_add_f64 v[92:93], v[92:93], v[110:111]
	v_add_f64 v[110:111], v[42:43], -v[52:53]
	v_add_f64 v[42:43], v[42:43], v[52:53]
	v_add_f64 v[52:53], v[100:101], v[102:103]
	;; [unrolled: 1-line block ×3, first 2 shown]
	v_fma_f64 v[102:103], v[118:119], s[4:5], v[114:115]
	v_fma_f64 v[106:107], v[56:57], s[12:13], v[58:59]
	v_add_f64 v[108:109], v[90:91], v[80:81]
	v_add_f64 v[80:81], v[90:91], -v[80:81]
	v_mul_f64 v[90:91], v[110:111], s[16:17]
	v_add_f64 v[94:95], v[94:95], v[112:113]
	v_mul_f64 v[112:113], v[42:43], s[20:21]
	v_fma_f64 v[56:57], v[56:57], s[18:19], v[58:59]
	v_add_f64 v[58:59], v[102:103], v[68:69]
	v_add_f64 v[68:69], v[106:107], v[74:75]
	v_mul_f64 v[74:75], v[110:111], s[36:37]
	v_fma_f64 v[114:115], v[118:119], s[4:5], -v[114:115]
	v_fma_f64 v[106:107], v[108:109], s[20:21], v[90:91]
	v_mul_f64 v[102:103], v[42:43], s[34:35]
	v_fma_f64 v[116:117], v[80:81], s[22:23], v[112:113]
	v_add_f64 v[46:47], v[56:57], v[46:47]
	v_fma_f64 v[56:57], v[108:109], s[20:21], -v[90:91]
	v_fma_f64 v[90:91], v[80:81], s[16:17], v[112:113]
	v_fma_f64 v[112:113], v[108:109], s[34:35], v[74:75]
	v_add_f64 v[44:45], v[114:115], v[44:45]
	v_add_f64 v[72:73], v[106:107], v[72:73]
	v_mul_f64 v[106:107], v[110:111], s[14:15]
	v_fma_f64 v[114:115], v[80:81], s[30:31], v[102:103]
	v_add_f64 v[54:55], v[116:117], v[54:55]
	v_mul_f64 v[116:117], v[42:43], s[2:3]
	v_add_f64 v[56:57], v[56:57], v[62:63]
	v_add_f64 v[62:63], v[90:91], v[66:67]
	;; [unrolled: 1-line block ×3, first 2 shown]
	v_fma_f64 v[74:75], v[108:109], s[34:35], -v[74:75]
	v_fma_f64 v[90:91], v[108:109], s[2:3], v[106:107]
	v_mul_f64 v[112:113], v[110:111], s[12:13]
	v_add_f64 v[70:71], v[114:115], v[76:77]
	v_fma_f64 v[76:77], v[80:81], s[36:37], v[102:103]
	v_fma_f64 v[102:103], v[80:81], s[0:1], v[116:117]
	v_add_f64 v[88:89], v[122:123], v[88:89]
	v_mul_f64 v[114:115], v[42:43], s[4:5]
	v_add_f64 v[74:75], v[74:75], v[78:79]
	v_add_f64 v[78:79], v[90:91], v[84:85]
	v_fma_f64 v[84:85], v[108:109], s[4:5], v[112:113]
	v_fma_f64 v[106:107], v[108:109], s[2:3], -v[106:107]
	v_fma_f64 v[116:117], v[80:81], s[14:15], v[116:117]
	v_add_f64 v[76:77], v[76:77], v[82:83]
	v_add_f64 v[82:83], v[102:103], v[86:87]
	v_mul_f64 v[42:43], v[42:43], s[26:27]
	v_fma_f64 v[102:103], v[108:109], s[4:5], -v[112:113]
	v_fma_f64 v[86:87], v[80:81], s[18:19], v[114:115]
	v_add_f64 v[84:85], v[84:85], v[92:93]
	v_add_f64 v[92:93], v[104:105], -v[60:61]
	v_add_f64 v[88:89], v[106:107], v[88:89]
	v_add_f64 v[90:91], v[116:117], v[98:99]
	v_mul_f64 v[98:99], v[110:111], s[24:25]
	v_fma_f64 v[106:107], v[80:81], s[12:13], v[114:115]
	v_add_f64 v[60:61], v[104:105], v[60:61]
	v_fma_f64 v[104:105], v[80:81], s[28:29], v[42:43]
	v_add_f64 v[52:53], v[102:103], v[52:53]
	v_add_f64 v[102:103], v[96:97], v[64:65]
	v_add_f64 v[64:65], v[96:97], -v[64:65]
	v_mul_f64 v[96:97], v[92:93], s[24:25]
	v_add_f64 v[86:87], v[86:87], v[94:95]
	v_fma_f64 v[94:95], v[108:109], s[26:27], v[98:99]
	v_add_f64 v[100:101], v[106:107], v[100:101]
	v_mul_f64 v[106:107], v[60:61], s[26:27]
	v_add_f64 v[68:69], v[104:105], v[68:69]
	v_fma_f64 v[42:43], v[80:81], s[24:25], v[42:43]
	v_mul_f64 v[80:81], v[92:93], s[22:23]
	v_fma_f64 v[104:105], v[102:103], s[26:27], v[96:97]
	v_fma_f64 v[96:97], v[102:103], s[26:27], -v[96:97]
	v_add_f64 v[58:59], v[94:95], v[58:59]
	v_fma_f64 v[94:95], v[108:109], s[26:27], -v[98:99]
	v_mul_f64 v[98:99], v[60:61], s[20:21]
	v_fma_f64 v[108:109], v[64:65], s[28:29], v[106:107]
	v_fma_f64 v[106:107], v[64:65], s[24:25], v[106:107]
	v_add_f64 v[42:43], v[42:43], v[46:47]
	v_add_f64 v[72:73], v[104:105], v[72:73]
	;; [unrolled: 1-line block ×3, first 2 shown]
	v_mul_f64 v[96:97], v[92:93], s[12:13]
	v_mul_f64 v[104:105], v[60:61], s[4:5]
	v_add_f64 v[44:45], v[94:95], v[44:45]
	v_fma_f64 v[46:47], v[102:103], s[20:21], v[80:81]
	v_fma_f64 v[94:95], v[64:65], s[16:17], v[98:99]
	v_add_f64 v[54:55], v[108:109], v[54:55]
	v_add_f64 v[62:63], v[106:107], v[62:63]
	v_fma_f64 v[80:81], v[102:103], s[20:21], -v[80:81]
	v_fma_f64 v[106:107], v[102:103], s[4:5], v[96:97]
	v_fma_f64 v[108:109], v[64:65], s[18:19], v[104:105]
	v_fma_f64 v[96:97], v[102:103], s[4:5], -v[96:97]
	v_fma_f64 v[104:105], v[64:65], s[12:13], v[104:105]
	v_add_f64 v[46:47], v[46:47], v[66:67]
	v_add_f64 v[66:67], v[94:95], v[70:71]
	v_mul_f64 v[70:71], v[92:93], s[30:31]
	v_mul_f64 v[94:95], v[60:61], s[34:35]
	v_fma_f64 v[98:99], v[64:65], s[22:23], v[98:99]
	v_add_f64 v[74:75], v[80:81], v[74:75]
	v_add_f64 v[80:81], v[108:109], v[82:83]
	;; [unrolled: 1-line block ×4, first 2 shown]
	v_add_f64 v[90:91], v[50:51], -v[40:41]
	v_add_f64 v[96:97], v[50:51], v[40:41]
	v_mul_f64 v[40:41], v[92:93], s[14:15]
	v_fma_f64 v[110:111], v[102:103], s[34:35], v[70:71]
	v_fma_f64 v[112:113], v[64:65], s[36:37], v[94:95]
	v_add_f64 v[76:77], v[98:99], v[76:77]
	v_mul_f64 v[50:51], v[60:61], s[2:3]
	v_fma_f64 v[60:61], v[102:103], s[34:35], -v[70:71]
	v_fma_f64 v[70:71], v[64:65], s[30:31], v[94:95]
	v_add_f64 v[92:93], v[48:49], v[38:39]
	v_add_f64 v[94:95], v[48:49], -v[38:39]
	v_mul_f64 v[48:49], v[90:91], s[30:31]
	v_mul_f64 v[98:99], v[96:97], s[34:35]
	v_fma_f64 v[38:39], v[102:103], s[2:3], v[40:41]
	v_add_f64 v[78:79], v[106:107], v[78:79]
	v_fma_f64 v[104:105], v[64:65], s[0:1], v[50:51]
	v_add_f64 v[106:107], v[60:61], v[52:53]
	v_add_f64 v[100:101], v[70:71], v[100:101]
	v_fma_f64 v[40:41], v[102:103], s[2:3], -v[40:41]
	v_fma_f64 v[50:51], v[64:65], s[14:15], v[50:51]
	v_fma_f64 v[52:53], v[92:93], s[34:35], v[48:49]
	;; [unrolled: 1-line block ×3, first 2 shown]
	v_add_f64 v[70:71], v[38:39], v[58:59]
	v_mul_f64 v[58:59], v[90:91], s[18:19]
	v_mul_f64 v[64:65], v[96:97], s[4:5]
	v_add_f64 v[68:69], v[104:105], v[68:69]
	v_add_f64 v[102:103], v[40:41], v[44:45]
	;; [unrolled: 1-line block ×5, first 2 shown]
	v_fma_f64 v[42:43], v[92:93], s[34:35], -v[48:49]
	v_fma_f64 v[44:45], v[94:95], s[30:31], v[98:99]
	v_fma_f64 v[48:49], v[92:93], s[4:5], v[58:59]
	;; [unrolled: 1-line block ×3, first 2 shown]
	v_mul_f64 v[54:55], v[90:91], s[24:25]
	v_fma_f64 v[52:53], v[92:93], s[4:5], -v[58:59]
	v_fma_f64 v[58:59], v[94:95], s[18:19], v[64:65]
	v_mul_f64 v[60:61], v[96:97], s[26:27]
	v_add_f64 v[42:43], v[42:43], v[56:57]
	v_add_f64 v[44:45], v[44:45], v[62:63]
	v_add_f64 v[46:47], v[48:49], v[46:47]
	v_add_f64 v[48:49], v[50:51], v[66:67]
	v_fma_f64 v[56:57], v[92:93], s[26:27], v[54:55]
	v_add_f64 v[50:51], v[52:53], v[74:75]
	v_add_f64 v[52:53], v[58:59], v[76:77]
	v_fma_f64 v[58:59], v[94:95], s[28:29], v[60:61]
	v_fma_f64 v[62:63], v[92:93], s[26:27], -v[54:55]
	v_mul_f64 v[64:65], v[90:91], s[14:15]
	v_mul_f64 v[66:67], v[96:97], s[2:3]
	;; [unrolled: 1-line block ×4, first 2 shown]
	v_fma_f64 v[60:61], v[94:95], s[24:25], v[60:61]
	v_add_f64 v[84:85], v[110:111], v[84:85]
	v_add_f64 v[86:87], v[112:113], v[86:87]
	;; [unrolled: 1-line block ×5, first 2 shown]
	v_fma_f64 v[62:63], v[92:93], s[2:3], v[64:65]
	v_fma_f64 v[76:77], v[94:95], s[0:1], v[66:67]
	;; [unrolled: 1-line block ×4, first 2 shown]
	v_add_f64 v[60:61], v[60:61], v[88:89]
	v_fma_f64 v[88:89], v[92:93], s[20:21], -v[72:73]
	v_fma_f64 v[90:91], v[94:95], s[16:17], v[74:75]
	v_fma_f64 v[78:79], v[92:93], s[2:3], -v[64:65]
	v_fma_f64 v[92:93], v[94:95], s[14:15], v[66:67]
	v_add_f64 v[62:63], v[62:63], v[84:85]
	v_add_f64 v[64:65], v[76:77], v[86:87]
	;; [unrolled: 1-line block ×8, first 2 shown]
	ds_write_b128 v143, v[32:35]
	ds_write_b128 v143, v[38:41] offset:768
	ds_write_b128 v143, v[46:49] offset:1536
	;; [unrolled: 1-line block ×10, first 2 shown]
	s_waitcnt lgkmcnt(0)
	; wave barrier
	s_waitcnt lgkmcnt(0)
	ds_read_b128 v[32:35], v143
	ds_read_b128 v[38:41], v143 offset:768
	v_mad_u64_u32 v[46:47], s[0:1], s8, v144, 0
	s_mov_b32 s2, 0xf07c1f08
	s_waitcnt lgkmcnt(1)
	v_mul_f64 v[42:43], v[6:7], v[34:35]
	v_mul_f64 v[6:7], v[6:7], v[32:33]
	s_mov_b32 s3, 0x3f5f07c1
	s_waitcnt lgkmcnt(0)
	v_mad_u64_u32 v[44:45], s[0:1], s11, v142, v[37:38]
	v_mov_b32_e32 v50, s7
	v_mov_b32_e32 v37, v44
	v_fma_f64 v[32:33], v[4:5], v[32:33], v[42:43]
	v_fma_f64 v[6:7], v[4:5], v[34:35], -v[6:7]
	v_mov_b32_e32 v4, v47
	v_mad_u64_u32 v[42:43], s[0:1], s9, v144, v[4:5]
	v_lshlrev_b64 v[36:37], 4, v[36:37]
	v_mov_b32_e32 v47, v42
	v_mul_f64 v[4:5], v[32:33], s[2:3]
	ds_read_b128 v[32:35], v143 offset:2112
	ds_read_b128 v[42:45], v143 offset:2880
	v_mul_f64 v[6:7], v[6:7], s[2:3]
	v_add_co_u32_e64 v51, s[0:1], s6, v36
	s_waitcnt lgkmcnt(1)
	v_mul_f64 v[48:49], v[2:3], v[34:35]
	v_mul_f64 v[2:3], v[2:3], v[32:33]
	v_addc_co_u32_e64 v50, s[0:1], v50, v37, s[0:1]
	v_lshlrev_b64 v[36:37], 4, v[46:47]
	v_add_co_u32_e64 v36, s[0:1], v51, v36
	v_fma_f64 v[32:33], v[0:1], v[32:33], v[48:49]
	v_fma_f64 v[34:35], v[0:1], v[34:35], -v[2:3]
	ds_read_b128 v[0:3], v143 offset:4224
	v_addc_co_u32_e64 v37, s[0:1], v50, v37, s[0:1]
	global_store_dwordx4 v[36:37], v[4:7], off
	ds_read_b128 v[46:49], v143 offset:6336
	s_mul_i32 s0, s9, 0x84
	v_mul_f64 v[4:5], v[32:33], s[2:3]
	v_mul_f64 v[6:7], v[34:35], s[2:3]
	ds_read_b128 v[32:35], v143 offset:4992
	s_waitcnt lgkmcnt(2)
	v_mul_f64 v[50:51], v[10:11], v[2:3]
	v_mul_f64 v[10:11], v[10:11], v[0:1]
	s_mul_hi_u32 s1, s8, 0x84
	s_add_i32 s1, s1, s0
	s_mul_i32 s0, s8, 0x84
	s_lshl_b64 s[4:5], s[0:1], 4
	v_mov_b32_e32 v52, s5
	v_add_co_u32_e64 v36, s[0:1], s4, v36
	v_fma_f64 v[50:51], v[8:9], v[0:1], v[50:51]
	v_fma_f64 v[8:9], v[8:9], v[2:3], -v[10:11]
	ds_read_b128 v[0:3], v143 offset:7104
	s_waitcnt lgkmcnt(2)
	v_mul_f64 v[10:11], v[14:15], v[48:49]
	v_mul_f64 v[14:15], v[14:15], v[46:47]
	v_addc_co_u32_e64 v37, s[0:1], v37, v52, s[0:1]
	global_store_dwordx4 v[36:37], v[4:7], off
	s_nop 0
	v_mul_f64 v[6:7], v[8:9], s[2:3]
	v_mul_f64 v[4:5], v[50:51], s[2:3]
	v_fma_f64 v[8:9], v[12:13], v[46:47], v[10:11]
	v_fma_f64 v[10:11], v[12:13], v[48:49], -v[14:15]
	v_mul_f64 v[12:13], v[18:19], v[40:41]
	v_mul_f64 v[14:15], v[18:19], v[38:39]
	v_add_co_u32_e64 v18, s[0:1], s4, v36
	v_addc_co_u32_e64 v19, s[0:1], v37, v52, s[0:1]
	v_mul_f64 v[8:9], v[8:9], s[2:3]
	v_mul_f64 v[10:11], v[10:11], s[2:3]
	v_fma_f64 v[12:13], v[16:17], v[38:39], v[12:13]
	v_fma_f64 v[14:15], v[16:17], v[40:41], -v[14:15]
	v_add_co_u32_e64 v16, s[0:1], s4, v18
	v_addc_co_u32_e64 v17, s[0:1], v19, v52, s[0:1]
	global_store_dwordx4 v[18:19], v[4:7], off
	global_store_dwordx4 v[16:17], v[8:11], off
	v_mul_f64 v[4:5], v[12:13], s[2:3]
	v_mul_f64 v[8:9], v[22:23], v[44:45]
	;; [unrolled: 1-line block ×4, first 2 shown]
	s_waitcnt lgkmcnt(1)
	v_mul_f64 v[12:13], v[26:27], v[34:35]
	v_mul_f64 v[14:15], v[26:27], v[32:33]
	s_mul_hi_u32 s1, s8, 0xfffffea4
	s_waitcnt lgkmcnt(0)
	v_mul_f64 v[18:19], v[30:31], v[2:3]
	s_mul_i32 s0, s9, 0xfffffea4
	v_fma_f64 v[8:9], v[20:21], v[42:43], v[8:9]
	v_fma_f64 v[10:11], v[20:21], v[44:45], -v[10:11]
	v_mul_f64 v[20:21], v[30:31], v[0:1]
	s_sub_i32 s1, s1, s8
	s_add_i32 s1, s1, s0
	s_mul_i32 s0, s8, 0xfffffea4
	s_lshl_b64 s[6:7], s[0:1], 4
	v_mov_b32_e32 v22, s7
	v_add_co_u32_e64 v16, s[0:1], s6, v16
	v_addc_co_u32_e64 v17, s[0:1], v17, v22, s[0:1]
	global_store_dwordx4 v[16:17], v[4:7], off
	v_add_co_u32_e64 v16, s[0:1], s4, v16
	v_mul_f64 v[4:5], v[8:9], s[2:3]
	v_mul_f64 v[6:7], v[10:11], s[2:3]
	v_fma_f64 v[8:9], v[24:25], v[32:33], v[12:13]
	v_fma_f64 v[10:11], v[24:25], v[34:35], -v[14:15]
	v_fma_f64 v[12:13], v[28:29], v[0:1], v[18:19]
	v_fma_f64 v[14:15], v[28:29], v[2:3], -v[20:21]
	v_addc_co_u32_e64 v17, s[0:1], v17, v52, s[0:1]
	global_store_dwordx4 v[16:17], v[4:7], off
	v_mul_f64 v[0:1], v[8:9], s[2:3]
	v_mul_f64 v[2:3], v[10:11], s[2:3]
	;; [unrolled: 1-line block ×4, first 2 shown]
	v_add_co_u32_e64 v8, s[0:1], s4, v16
	v_addc_co_u32_e64 v9, s[0:1], v17, v52, s[0:1]
	global_store_dwordx4 v[8:9], v[0:3], off
	s_nop 0
	v_add_co_u32_e64 v0, s[0:1], s4, v8
	v_addc_co_u32_e64 v1, s[0:1], v9, v52, s[0:1]
	global_store_dwordx4 v[0:1], v[4:7], off
	s_and_b64 exec, exec, vcc
	s_cbranch_execz .LBB0_31
; %bb.30:
	s_movk_i32 s0, 0x1000
	global_load_dwordx4 v[2:5], v[140:141], off offset:1536
	global_load_dwordx4 v[6:9], v[140:141], off offset:3648
	v_add_co_u32_e32 v18, vcc, s0, v140
	v_addc_co_u32_e32 v19, vcc, 0, v141, vcc
	global_load_dwordx4 v[10:13], v[18:19], off offset:1664
	global_load_dwordx4 v[14:17], v[18:19], off offset:3776
	ds_read_b128 v[18:21], v143 offset:1536
	ds_read_b128 v[22:25], v143 offset:3648
	;; [unrolled: 1-line block ×4, first 2 shown]
	v_mov_b32_e32 v35, s7
	v_add_co_u32_e32 v34, vcc, s6, v0
	v_addc_co_u32_e32 v35, vcc, v1, v35, vcc
	v_mov_b32_e32 v46, s5
	v_add_co_u32_e32 v36, vcc, s4, v34
	v_addc_co_u32_e32 v37, vcc, v35, v46, vcc
	v_add_co_u32_e32 v38, vcc, s4, v36
	v_addc_co_u32_e32 v39, vcc, v37, v46, vcc
	s_waitcnt vmcnt(3) lgkmcnt(3)
	v_mul_f64 v[0:1], v[20:21], v[4:5]
	v_mul_f64 v[4:5], v[18:19], v[4:5]
	s_waitcnt vmcnt(2) lgkmcnt(2)
	v_mul_f64 v[40:41], v[24:25], v[8:9]
	v_mul_f64 v[8:9], v[22:23], v[8:9]
	s_waitcnt vmcnt(1) lgkmcnt(1)
	v_mul_f64 v[42:43], v[28:29], v[12:13]
	v_mul_f64 v[12:13], v[26:27], v[12:13]
	s_waitcnt vmcnt(0) lgkmcnt(0)
	v_mul_f64 v[44:45], v[32:33], v[16:17]
	v_mul_f64 v[16:17], v[30:31], v[16:17]
	v_fma_f64 v[0:1], v[18:19], v[2:3], v[0:1]
	v_fma_f64 v[2:3], v[2:3], v[20:21], -v[4:5]
	v_fma_f64 v[4:5], v[22:23], v[6:7], v[40:41]
	v_fma_f64 v[6:7], v[6:7], v[24:25], -v[8:9]
	;; [unrolled: 2-line block ×4, first 2 shown]
	v_mul_f64 v[0:1], v[0:1], s[2:3]
	v_mul_f64 v[2:3], v[2:3], s[2:3]
	;; [unrolled: 1-line block ×8, first 2 shown]
	v_add_co_u32_e32 v16, vcc, s4, v38
	v_addc_co_u32_e32 v17, vcc, v39, v46, vcc
	global_store_dwordx4 v[34:35], v[0:3], off
	global_store_dwordx4 v[36:37], v[4:7], off
	;; [unrolled: 1-line block ×4, first 2 shown]
.LBB0_31:
	s_endpgm
	.section	.rodata,"a",@progbits
	.p2align	6, 0x0
	.amdhsa_kernel bluestein_single_fwd_len528_dim1_dp_op_CI_CI
		.amdhsa_group_segment_fixed_size 8448
		.amdhsa_private_segment_fixed_size 0
		.amdhsa_kernarg_size 104
		.amdhsa_user_sgpr_count 6
		.amdhsa_user_sgpr_private_segment_buffer 1
		.amdhsa_user_sgpr_dispatch_ptr 0
		.amdhsa_user_sgpr_queue_ptr 0
		.amdhsa_user_sgpr_kernarg_segment_ptr 1
		.amdhsa_user_sgpr_dispatch_id 0
		.amdhsa_user_sgpr_flat_scratch_init 0
		.amdhsa_user_sgpr_private_segment_size 0
		.amdhsa_uses_dynamic_stack 0
		.amdhsa_system_sgpr_private_segment_wavefront_offset 0
		.amdhsa_system_sgpr_workgroup_id_x 1
		.amdhsa_system_sgpr_workgroup_id_y 0
		.amdhsa_system_sgpr_workgroup_id_z 0
		.amdhsa_system_sgpr_workgroup_info 0
		.amdhsa_system_vgpr_workitem_id 0
		.amdhsa_next_free_vgpr 215
		.amdhsa_next_free_sgpr 38
		.amdhsa_reserve_vcc 1
		.amdhsa_reserve_flat_scratch 0
		.amdhsa_float_round_mode_32 0
		.amdhsa_float_round_mode_16_64 0
		.amdhsa_float_denorm_mode_32 3
		.amdhsa_float_denorm_mode_16_64 3
		.amdhsa_dx10_clamp 1
		.amdhsa_ieee_mode 1
		.amdhsa_fp16_overflow 0
		.amdhsa_exception_fp_ieee_invalid_op 0
		.amdhsa_exception_fp_denorm_src 0
		.amdhsa_exception_fp_ieee_div_zero 0
		.amdhsa_exception_fp_ieee_overflow 0
		.amdhsa_exception_fp_ieee_underflow 0
		.amdhsa_exception_fp_ieee_inexact 0
		.amdhsa_exception_int_div_zero 0
	.end_amdhsa_kernel
	.text
.Lfunc_end0:
	.size	bluestein_single_fwd_len528_dim1_dp_op_CI_CI, .Lfunc_end0-bluestein_single_fwd_len528_dim1_dp_op_CI_CI
                                        ; -- End function
	.section	.AMDGPU.csdata,"",@progbits
; Kernel info:
; codeLenInByte = 14752
; NumSgprs: 42
; NumVgprs: 215
; ScratchSize: 0
; MemoryBound: 0
; FloatMode: 240
; IeeeMode: 1
; LDSByteSize: 8448 bytes/workgroup (compile time only)
; SGPRBlocks: 5
; VGPRBlocks: 53
; NumSGPRsForWavesPerEU: 42
; NumVGPRsForWavesPerEU: 215
; Occupancy: 1
; WaveLimiterHint : 1
; COMPUTE_PGM_RSRC2:SCRATCH_EN: 0
; COMPUTE_PGM_RSRC2:USER_SGPR: 6
; COMPUTE_PGM_RSRC2:TRAP_HANDLER: 0
; COMPUTE_PGM_RSRC2:TGID_X_EN: 1
; COMPUTE_PGM_RSRC2:TGID_Y_EN: 0
; COMPUTE_PGM_RSRC2:TGID_Z_EN: 0
; COMPUTE_PGM_RSRC2:TIDIG_COMP_CNT: 0
	.type	__hip_cuid_6891d87934811d44,@object ; @__hip_cuid_6891d87934811d44
	.section	.bss,"aw",@nobits
	.globl	__hip_cuid_6891d87934811d44
__hip_cuid_6891d87934811d44:
	.byte	0                               ; 0x0
	.size	__hip_cuid_6891d87934811d44, 1

	.ident	"AMD clang version 19.0.0git (https://github.com/RadeonOpenCompute/llvm-project roc-6.4.0 25133 c7fe45cf4b819c5991fe208aaa96edf142730f1d)"
	.section	".note.GNU-stack","",@progbits
	.addrsig
	.addrsig_sym __hip_cuid_6891d87934811d44
	.amdgpu_metadata
---
amdhsa.kernels:
  - .args:
      - .actual_access:  read_only
        .address_space:  global
        .offset:         0
        .size:           8
        .value_kind:     global_buffer
      - .actual_access:  read_only
        .address_space:  global
        .offset:         8
        .size:           8
        .value_kind:     global_buffer
      - .actual_access:  read_only
        .address_space:  global
        .offset:         16
        .size:           8
        .value_kind:     global_buffer
      - .actual_access:  read_only
        .address_space:  global
        .offset:         24
        .size:           8
        .value_kind:     global_buffer
      - .actual_access:  read_only
        .address_space:  global
        .offset:         32
        .size:           8
        .value_kind:     global_buffer
      - .offset:         40
        .size:           8
        .value_kind:     by_value
      - .address_space:  global
        .offset:         48
        .size:           8
        .value_kind:     global_buffer
      - .address_space:  global
        .offset:         56
        .size:           8
        .value_kind:     global_buffer
      - .address_space:  global
        .offset:         64
        .size:           8
        .value_kind:     global_buffer
      - .address_space:  global
        .offset:         72
        .size:           8
        .value_kind:     global_buffer
      - .offset:         80
        .size:           4
        .value_kind:     by_value
      - .address_space:  global
        .offset:         88
        .size:           8
        .value_kind:     global_buffer
      - .address_space:  global
        .offset:         96
        .size:           8
        .value_kind:     global_buffer
    .group_segment_fixed_size: 8448
    .kernarg_segment_align: 8
    .kernarg_segment_size: 104
    .language:       OpenCL C
    .language_version:
      - 2
      - 0
    .max_flat_workgroup_size: 48
    .name:           bluestein_single_fwd_len528_dim1_dp_op_CI_CI
    .private_segment_fixed_size: 0
    .sgpr_count:     42
    .sgpr_spill_count: 0
    .symbol:         bluestein_single_fwd_len528_dim1_dp_op_CI_CI.kd
    .uniform_work_group_size: 1
    .uses_dynamic_stack: false
    .vgpr_count:     215
    .vgpr_spill_count: 0
    .wavefront_size: 64
amdhsa.target:   amdgcn-amd-amdhsa--gfx906
amdhsa.version:
  - 1
  - 2
...

	.end_amdgpu_metadata
